;; amdgpu-corpus repo=pytorch/pytorch kind=compiled arch=gfx1100 opt=O3
	.text
	.amdgcn_target "amdgcn-amd-amdhsa--gfx1100"
	.amdhsa_code_object_version 6
	.section	.text._ZN2at6native12_GLOBAL__N_128conv_depthwise3d_cuda_kernelIddLi3ELi3ELi3ELi1ELi1ELi1EEEvN5torch10headeronly6detail27GenericPackedTensorAccessorINS5_14TensorAccessorIN3c108ArrayRefIlEEKT_Lm4ENS4_16DefaultPtrTraitsEiEENS_6detail16IndexBoundsCheckILm5EiEESC_Lm5ESD_iEENS6_INS7_ISA_SB_Lm4ESD_iEESH_SB_Lm5ESD_iEESI_PSC_iiiiiiiii,"axG",@progbits,_ZN2at6native12_GLOBAL__N_128conv_depthwise3d_cuda_kernelIddLi3ELi3ELi3ELi1ELi1ELi1EEEvN5torch10headeronly6detail27GenericPackedTensorAccessorINS5_14TensorAccessorIN3c108ArrayRefIlEEKT_Lm4ENS4_16DefaultPtrTraitsEiEENS_6detail16IndexBoundsCheckILm5EiEESC_Lm5ESD_iEENS6_INS7_ISA_SB_Lm4ESD_iEESH_SB_Lm5ESD_iEESI_PSC_iiiiiiiii,comdat
	.globl	_ZN2at6native12_GLOBAL__N_128conv_depthwise3d_cuda_kernelIddLi3ELi3ELi3ELi1ELi1ELi1EEEvN5torch10headeronly6detail27GenericPackedTensorAccessorINS5_14TensorAccessorIN3c108ArrayRefIlEEKT_Lm4ENS4_16DefaultPtrTraitsEiEENS_6detail16IndexBoundsCheckILm5EiEESC_Lm5ESD_iEENS6_INS7_ISA_SB_Lm4ESD_iEESH_SB_Lm5ESD_iEESI_PSC_iiiiiiiii ; -- Begin function _ZN2at6native12_GLOBAL__N_128conv_depthwise3d_cuda_kernelIddLi3ELi3ELi3ELi1ELi1ELi1EEEvN5torch10headeronly6detail27GenericPackedTensorAccessorINS5_14TensorAccessorIN3c108ArrayRefIlEEKT_Lm4ENS4_16DefaultPtrTraitsEiEENS_6detail16IndexBoundsCheckILm5EiEESC_Lm5ESD_iEENS6_INS7_ISA_SB_Lm4ESD_iEESH_SB_Lm5ESD_iEESI_PSC_iiiiiiiii
	.p2align	8
	.type	_ZN2at6native12_GLOBAL__N_128conv_depthwise3d_cuda_kernelIddLi3ELi3ELi3ELi1ELi1ELi1EEEvN5torch10headeronly6detail27GenericPackedTensorAccessorINS5_14TensorAccessorIN3c108ArrayRefIlEEKT_Lm4ENS4_16DefaultPtrTraitsEiEENS_6detail16IndexBoundsCheckILm5EiEESC_Lm5ESD_iEENS6_INS7_ISA_SB_Lm4ESD_iEESH_SB_Lm5ESD_iEESI_PSC_iiiiiiiii,@function
_ZN2at6native12_GLOBAL__N_128conv_depthwise3d_cuda_kernelIddLi3ELi3ELi3ELi1ELi1ELi1EEEvN5torch10headeronly6detail27GenericPackedTensorAccessorINS5_14TensorAccessorIN3c108ArrayRefIlEEKT_Lm4ENS4_16DefaultPtrTraitsEiEENS_6detail16IndexBoundsCheckILm5EiEESC_Lm5ESD_iEENS6_INS7_ISA_SB_Lm4ESD_iEESH_SB_Lm5ESD_iEESI_PSC_iiiiiiiii: ; @_ZN2at6native12_GLOBAL__N_128conv_depthwise3d_cuda_kernelIddLi3ELi3ELi3ELi1ELi1ELi1EEEvN5torch10headeronly6detail27GenericPackedTensorAccessorINS5_14TensorAccessorIN3c108ArrayRefIlEEKT_Lm4ENS4_16DefaultPtrTraitsEiEENS_6detail16IndexBoundsCheckILm5EiEESC_Lm5ESD_iEENS6_INS7_ISA_SB_Lm4ESD_iEESH_SB_Lm5ESD_iEESI_PSC_iiiiiiiii
; %bb.0:
	s_clause 0x3
	s_load_b128 s[16:19], s[0:1], 0xc
	s_load_b64 s[34:35], s[0:1], 0x48
	s_load_b32 s3, s[0:1], 0xcc
	s_load_b128 s[20:23], s[0:1], 0x38
	v_mov_b32_e32 v9, 0
	s_mov_b32 s7, exec_lo
	s_waitcnt lgkmcnt(0)
	s_abs_i32 s2, s16
	s_add_u32 s4, s0, 0xc0
	v_cvt_f32_u32_e32 v1, s2
	s_addc_u32 s5, s1, 0
	s_and_b32 s6, s3, 0xffff
	s_mul_i32 s14, s35, s20
	s_mul_i32 s33, s6, s15
	v_rcp_iflag_f32_e32 v1, v1
	s_mul_hi_u32 s20, s6, s15
	s_ashr_i32 s15, s14, 31
	s_waitcnt_depctr 0xfff
	v_mul_f32_e32 v3, 0x4f7ffffe, v1
	v_add_co_u32 v1, s3, s33, v0
	s_delay_alu instid0(VALU_DEP_1) | instskip(NEXT) | instid1(VALU_DEP_3)
	v_add_co_ci_u32_e64 v2, null, s20, 0, s3
	v_cvt_u32_f32_e32 v3, v3
	s_delay_alu instid0(VALU_DEP_1) | instskip(NEXT) | instid1(VALU_DEP_3)
	v_readfirstlane_b32 s3, v3
	v_cmpx_gt_i64_e64 s[14:15], v[1:2]
	s_cbranch_execz .LBB0_59
; %bb.1:
	s_sub_i32 s7, 0, s2
	s_abs_i32 s54, s21
	s_mul_i32 s7, s7, s3
	s_load_b64 s[40:41], s[0:1], 0x90
	s_mul_hi_u32 s7, s3, s7
	s_ashr_i32 s55, s21, 31
	s_add_i32 s3, s3, s7
	s_ashr_i32 s7, s16, 31
	s_load_b32 s16, s[0:1], 0x7c
	s_mul_hi_u32 s3, s54, s3
	s_xor_b32 s7, s55, s7
	s_mul_i32 s8, s3, s2
	s_add_i32 s9, s3, 1
	s_sub_i32 s8, s54, s8
	v_cvt_f32_u32_e32 v4, s54
	s_sub_i32 s10, s8, s2
	s_cmp_ge_u32 s8, s2
	s_clause 0x1
	s_load_b128 s[24:27], s[0:1], 0x98
	s_load_b64 s[42:43], s[0:1], 0xa8
	s_load_b32 s4, s[4:5], 0x0
	s_cselect_b32 s3, s9, s3
	s_cselect_b32 s8, s10, s8
	s_add_i32 s9, s3, 1
	s_cmp_ge_u32 s8, s2
	v_rcp_iflag_f32_e32 v4, v4
	s_cselect_b32 s2, s9, s3
	s_add_i32 s3, s18, -3
	s_xor_b32 s8, s2, s7
	s_mul_i32 s2, s19, s3
	s_sub_i32 s7, s8, s7
	s_ashr_i32 s3, s2, 31
	s_waitcnt lgkmcnt(0)
	s_cmp_lg_u64 s[40:41], 0
	s_clause 0x1
	s_load_b64 s[44:45], s[0:1], 0x0
	s_load_b128 s[28:31], s[0:1], 0x1c
	s_cselect_b32 s56, -1, 0
	s_abs_i32 s57, s34
	s_abs_i32 s59, s23
	v_cvt_f32_u32_e32 v1, s57
	s_abs_i32 s60, s22
	v_cvt_f32_u32_e32 v2, s59
	v_cvt_f32_u32_e32 v3, s60
	s_abs_i32 s61, s7
	v_rcp_iflag_f32_e32 v1, v1
	v_cvt_f32_u32_e32 v5, s61
	v_rcp_iflag_f32_e32 v2, v2
	v_rcp_iflag_f32_e32 v3, v3
	s_sub_i32 s5, 0, s57
	s_clause 0x1
	s_load_b32 s62, s[0:1], 0x2c
	s_load_b64 s[46:47], s[0:1], 0x30
	v_rcp_iflag_f32_e32 v5, v5
	v_mul_f32_e32 v4, 0x4f7ffffe, v4
	s_clause 0x1
	s_load_b64 s[48:49], s[0:1], 0x60
	s_load_b128 s[36:39], s[0:1], 0x50
	s_sub_i32 s0, 0, s59
	v_mul_f32_e32 v1, 0x4f7ffffe, v1
	s_sub_i32 s1, 0, s61
	s_waitcnt_depctr 0xfff
	v_dual_mul_f32 v2, 0x4f7ffffe, v2 :: v_dual_mul_f32 v3, 0x4f7ffffe, v3
	v_cvt_u32_f32_e32 v4, v4
	v_cvt_u32_f32_e32 v1, v1
	s_mov_b32 s58, 0
	s_delay_alu instid0(VALU_DEP_3)
	v_cvt_u32_f32_e32 v2, v2
	v_cvt_u32_f32_e32 v3, v3
	s_mul_i32 s63, s4, s6
	v_mul_lo_u32 v6, s5, v1
	s_ashr_i32 s64, s34, 31
	v_mul_lo_u32 v7, s0, v2
	s_sub_i32 s0, 0, s60
	s_ashr_i32 s65, s23, 31
	v_mul_lo_u32 v8, s0, v3
	s_sub_i32 s0, 0, s54
	s_ashr_i32 s66, s22, 31
	v_mul_lo_u32 v10, s0, v4
	v_mul_hi_u32 v6, v1, v6
	v_mul_f32_e32 v5, 0x4f7ffffe, v5
	v_mul_hi_u32 v7, v2, v7
	s_mov_b32 s0, s19
	v_mul_hi_u32 v8, v3, v8
	s_ashr_i32 s67, s7, 31
	s_lshl_b64 s[52:53], s[2:3], 3
	v_mul_hi_u32 v13, v4, v10
	v_add_nc_u32_e32 v10, v1, v6
	v_cvt_u32_f32_e32 v5, v5
	s_delay_alu instid0(VALU_DEP_4) | instskip(NEXT) | instid1(VALU_DEP_2)
	v_add_nc_u32_e32 v12, v3, v8
	v_mul_lo_u32 v11, s1, v5
	v_add_nc_u32_e32 v13, v4, v13
	s_ashr_i32 s1, s19, 31
	s_delay_alu instid0(SALU_CYCLE_1) | instskip(NEXT) | instid1(VALU_DEP_2)
	s_lshl_b64 s[50:51], s[0:1], 3
	v_mul_hi_u32 v14, v5, v11
	v_add_nc_u32_e32 v11, v2, v7
	s_delay_alu instid0(VALU_DEP_2)
	v_add_nc_u32_e32 v14, v5, v14
	s_branch .LBB0_3
.LBB0_2:                                ;   in Loop: Header=BB0_3 Depth=1
	v_mul_lo_u32 v5, v16, s35
	v_mul_lo_u32 v1, s36, v1
	;; [unrolled: 1-line block ×4, first 2 shown]
	v_add_co_u32 v0, vcc_lo, v0, s63
	v_add_co_ci_u32_e32 v9, vcc_lo, 0, v9, vcc_lo
	v_ashrrev_i32_e32 v6, 31, v5
	v_ashrrev_i32_e32 v2, 31, v1
	v_ashrrev_i32_e32 v8, 31, v7
	v_mul_lo_u32 v18, s39, v15
	v_ashrrev_i32_e32 v17, 31, v16
	v_lshlrev_b64 v[5:6], 3, v[5:6]
	v_lshlrev_b64 v[1:2], 3, v[1:2]
	s_delay_alu instid0(VALU_DEP_4) | instskip(NEXT) | instid1(VALU_DEP_3)
	v_ashrrev_i32_e32 v19, 31, v18
	v_add_co_u32 v15, vcc_lo, s46, v5
	s_delay_alu instid0(VALU_DEP_4) | instskip(SKIP_1) | instid1(VALU_DEP_3)
	v_add_co_ci_u32_e32 v20, vcc_lo, s47, v6, vcc_lo
	v_lshlrev_b64 v[5:6], 3, v[7:8]
	v_add_co_u32 v7, vcc_lo, v15, v1
	s_delay_alu instid0(VALU_DEP_3) | instskip(SKIP_1) | instid1(VALU_DEP_3)
	v_add_co_ci_u32_e32 v8, vcc_lo, v20, v2, vcc_lo
	v_lshlrev_b64 v[1:2], 3, v[16:17]
	v_add_co_u32 v15, vcc_lo, v7, v5
	s_delay_alu instid0(VALU_DEP_3)
	v_add_co_ci_u32_e32 v16, vcc_lo, v8, v6, vcc_lo
	v_add_co_u32 v7, vcc_lo, s33, v0
	v_lshlrev_b64 v[5:6], 3, v[18:19]
	v_add_co_ci_u32_e32 v8, vcc_lo, s20, v9, vcc_lo
	v_add_co_u32 v1, vcc_lo, v15, v1
	v_add_co_ci_u32_e32 v2, vcc_lo, v16, v2, vcc_lo
	s_delay_alu instid0(VALU_DEP_3) | instskip(NEXT) | instid1(VALU_DEP_3)
	v_cmp_le_i64_e32 vcc_lo, s[14:15], v[7:8]
	v_add_co_u32 v1, s0, v1, v5
	s_delay_alu instid0(VALU_DEP_1)
	v_add_co_ci_u32_e64 v2, s0, v2, v6, s0
	s_or_b32 s58, vcc_lo, s58
	global_store_b64 v[1:2], v[3:4], off
	s_and_not1_b32 exec_lo, exec_lo, s58
	s_cbranch_execz .LBB0_59
.LBB0_3:                                ; =>This Inner Loop Header: Depth=1
	v_add_nc_u32_e32 v2, s33, v0
	s_delay_alu instid0(VALU_DEP_1) | instskip(NEXT) | instid1(VALU_DEP_1)
	v_sub_nc_u32_e32 v1, 0, v2
	v_max_i32_e32 v1, v2, v1
	s_delay_alu instid0(VALU_DEP_1) | instskip(NEXT) | instid1(VALU_DEP_1)
	v_mul_hi_u32 v3, v1, v10
	v_mul_lo_u32 v4, v3, s57
	s_delay_alu instid0(VALU_DEP_1) | instskip(SKIP_1) | instid1(VALU_DEP_2)
	v_sub_nc_u32_e32 v1, v1, v4
	v_add_nc_u32_e32 v4, 1, v3
	v_subrev_nc_u32_e32 v5, s57, v1
	v_cmp_le_u32_e32 vcc_lo, s57, v1
	s_delay_alu instid0(VALU_DEP_3) | instskip(NEXT) | instid1(VALU_DEP_3)
	v_cndmask_b32_e32 v3, v3, v4, vcc_lo
	v_cndmask_b32_e32 v1, v1, v5, vcc_lo
	v_ashrrev_i32_e32 v4, 31, v2
	s_delay_alu instid0(VALU_DEP_3) | instskip(NEXT) | instid1(VALU_DEP_3)
	v_add_nc_u32_e32 v5, 1, v3
	v_cmp_le_u32_e32 vcc_lo, s57, v1
	s_delay_alu instid0(VALU_DEP_3) | instskip(NEXT) | instid1(VALU_DEP_3)
	v_xor_b32_e32 v4, s64, v4
	v_cndmask_b32_e32 v1, v3, v5, vcc_lo
	s_delay_alu instid0(VALU_DEP_1) | instskip(NEXT) | instid1(VALU_DEP_1)
	v_xor_b32_e32 v1, v1, v4
	v_sub_nc_u32_e32 v3, v1, v4
	s_delay_alu instid0(VALU_DEP_1) | instskip(NEXT) | instid1(VALU_DEP_1)
	v_sub_nc_u32_e32 v1, 0, v3
	v_max_i32_e32 v1, v3, v1
	s_delay_alu instid0(VALU_DEP_1) | instskip(NEXT) | instid1(VALU_DEP_1)
	v_mul_hi_u32 v4, v1, v11
	v_mul_lo_u32 v5, v4, s59
	s_delay_alu instid0(VALU_DEP_1) | instskip(SKIP_1) | instid1(VALU_DEP_2)
	v_sub_nc_u32_e32 v1, v1, v5
	v_add_nc_u32_e32 v5, 1, v4
	v_subrev_nc_u32_e32 v6, s59, v1
	v_cmp_le_u32_e32 vcc_lo, s59, v1
	s_delay_alu instid0(VALU_DEP_2) | instskip(SKIP_1) | instid1(VALU_DEP_2)
	v_dual_cndmask_b32 v4, v4, v5 :: v_dual_cndmask_b32 v1, v1, v6
	v_ashrrev_i32_e32 v5, 31, v3
	v_add_nc_u32_e32 v6, 1, v4
	s_delay_alu instid0(VALU_DEP_3) | instskip(NEXT) | instid1(VALU_DEP_3)
	v_cmp_le_u32_e32 vcc_lo, s59, v1
	v_xor_b32_e32 v5, s65, v5
	s_delay_alu instid0(VALU_DEP_3) | instskip(NEXT) | instid1(VALU_DEP_1)
	v_cndmask_b32_e32 v1, v4, v6, vcc_lo
	v_xor_b32_e32 v1, v1, v5
	s_delay_alu instid0(VALU_DEP_1) | instskip(NEXT) | instid1(VALU_DEP_1)
	v_sub_nc_u32_e32 v4, v1, v5
	v_sub_nc_u32_e32 v1, 0, v4
	s_delay_alu instid0(VALU_DEP_1) | instskip(NEXT) | instid1(VALU_DEP_1)
	v_max_i32_e32 v1, v4, v1
	v_mul_hi_u32 v5, v1, v12
	s_delay_alu instid0(VALU_DEP_1) | instskip(NEXT) | instid1(VALU_DEP_1)
	v_mul_lo_u32 v6, v5, s60
	v_sub_nc_u32_e32 v1, v1, v6
	v_add_nc_u32_e32 v6, 1, v5
	s_delay_alu instid0(VALU_DEP_2) | instskip(SKIP_1) | instid1(VALU_DEP_3)
	v_subrev_nc_u32_e32 v7, s60, v1
	v_cmp_le_u32_e32 vcc_lo, s60, v1
	v_cndmask_b32_e32 v5, v5, v6, vcc_lo
	s_delay_alu instid0(VALU_DEP_3) | instskip(SKIP_1) | instid1(VALU_DEP_3)
	v_cndmask_b32_e32 v1, v1, v7, vcc_lo
	v_ashrrev_i32_e32 v6, 31, v4
	v_add_nc_u32_e32 v7, 1, v5
	s_delay_alu instid0(VALU_DEP_3) | instskip(NEXT) | instid1(VALU_DEP_3)
	v_cmp_le_u32_e32 vcc_lo, s60, v1
	v_xor_b32_e32 v6, s66, v6
	s_delay_alu instid0(VALU_DEP_3) | instskip(NEXT) | instid1(VALU_DEP_1)
	v_cndmask_b32_e32 v1, v5, v7, vcc_lo
	v_xor_b32_e32 v1, v1, v6
	s_delay_alu instid0(VALU_DEP_1) | instskip(NEXT) | instid1(VALU_DEP_1)
	v_sub_nc_u32_e32 v5, v1, v6
	v_sub_nc_u32_e32 v1, 0, v5
	s_delay_alu instid0(VALU_DEP_1) | instskip(NEXT) | instid1(VALU_DEP_1)
	v_max_i32_e32 v1, v5, v1
	v_mul_hi_u32 v6, v1, v13
	s_delay_alu instid0(VALU_DEP_1) | instskip(NEXT) | instid1(VALU_DEP_1)
	v_mul_lo_u32 v7, v6, s54
	v_sub_nc_u32_e32 v1, v1, v7
	v_add_nc_u32_e32 v7, 1, v6
	s_delay_alu instid0(VALU_DEP_2) | instskip(SKIP_1) | instid1(VALU_DEP_2)
	v_subrev_nc_u32_e32 v8, s54, v1
	v_cmp_le_u32_e32 vcc_lo, s54, v1
	v_dual_cndmask_b32 v6, v6, v7 :: v_dual_cndmask_b32 v1, v1, v8
	v_ashrrev_i32_e32 v7, 31, v5
	s_delay_alu instid0(VALU_DEP_2) | instskip(NEXT) | instid1(VALU_DEP_3)
	v_add_nc_u32_e32 v8, 1, v6
	v_cmp_le_u32_e32 vcc_lo, s54, v1
	s_delay_alu instid0(VALU_DEP_3) | instskip(NEXT) | instid1(VALU_DEP_3)
	v_xor_b32_e32 v7, s55, v7
	v_cndmask_b32_e32 v1, v6, v8, vcc_lo
	s_delay_alu instid0(VALU_DEP_1) | instskip(NEXT) | instid1(VALU_DEP_1)
	v_xor_b32_e32 v1, v1, v7
	v_sub_nc_u32_e32 v16, v1, v7
	v_mul_lo_u32 v7, v3, s34
	s_delay_alu instid0(VALU_DEP_2) | instskip(NEXT) | instid1(VALU_DEP_2)
	v_mul_lo_u32 v1, v16, s21
	v_sub_nc_u32_e32 v15, v2, v7
	v_mul_lo_u32 v2, v4, s23
	s_delay_alu instid0(VALU_DEP_3) | instskip(NEXT) | instid1(VALU_DEP_3)
	v_sub_nc_u32_e32 v1, v5, v1
	v_mul_lo_u32 v18, v15, s26
	s_delay_alu instid0(VALU_DEP_2) | instskip(NEXT) | instid1(VALU_DEP_4)
	v_sub_nc_u32_e32 v6, 0, v1
	v_sub_nc_u32_e32 v17, v3, v2
	v_mul_lo_u32 v28, s16, v1
	s_delay_alu instid0(VALU_DEP_4) | instskip(NEXT) | instid1(VALU_DEP_4)
	v_subrev_nc_u32_e32 v21, s43, v18
	v_max_i32_e32 v6, v1, v6
	s_delay_alu instid0(VALU_DEP_2) | instskip(NEXT) | instid1(VALU_DEP_2)
	v_cmp_lt_i32_e64 s0, -1, v21
	v_mul_hi_u32 v8, v6, v14
	s_delay_alu instid0(VALU_DEP_1) | instskip(SKIP_1) | instid1(VALU_DEP_2)
	v_mul_lo_u32 v7, v8, s61
	v_add_nc_u32_e32 v2, 1, v8
	v_sub_nc_u32_e32 v3, v6, v7
	v_mul_lo_u32 v7, v5, s22
	v_mul_lo_u32 v6, v17, s25
	s_waitcnt lgkmcnt(0)
	v_mul_lo_u32 v5, s62, v21
	v_subrev_nc_u32_e32 v18, s61, v3
	v_cmp_le_u32_e32 vcc_lo, s61, v3
	s_delay_alu instid0(VALU_DEP_4) | instskip(SKIP_1) | instid1(VALU_DEP_4)
	v_subrev_nc_u32_e32 v20, s42, v6
	v_cndmask_b32_e32 v8, v8, v2, vcc_lo
	v_cndmask_b32_e32 v3, v3, v18, vcc_lo
	v_ashrrev_i32_e32 v2, 31, v1
	v_sub_nc_u32_e32 v18, v4, v7
	v_ashrrev_i32_e32 v6, 31, v5
	v_add_nc_u32_e32 v19, 1, v8
	v_cmp_le_u32_e32 vcc_lo, s61, v3
	v_xor_b32_e32 v24, s67, v2
	v_cmp_lt_i32_e64 s6, -1, v20
	v_lshlrev_b64 v[22:23], 3, v[5:6]
	v_mul_lo_u32 v5, s28, v16
	v_cndmask_b32_e32 v8, v8, v19, vcc_lo
	v_mul_lo_u32 v19, v18, s24
	v_mul_lo_u32 v7, s31, v20
	v_cmp_gt_i32_e64 s5, s18, v20
	v_cmp_gt_i32_e32 vcc_lo, s19, v21
	v_xor_b32_e32 v8, v8, v24
	v_mov_b32_e32 v3, 0
	v_mov_b32_e32 v4, 0
	v_subrev_nc_u32_e32 v19, s27, v19
	s_delay_alu instid0(VALU_DEP_4) | instskip(SKIP_1) | instid1(VALU_DEP_3)
	v_sub_nc_u32_e32 v6, v8, v24
	v_ashrrev_i32_e32 v8, 31, v7
	v_cmp_lt_i32_e64 s8, -1, v19
	s_delay_alu instid0(VALU_DEP_3)
	v_mul_lo_u32 v24, s29, v6
	v_ashrrev_i32_e32 v6, 31, v5
	v_mul_lo_u32 v26, s30, v19
	v_cmp_gt_i32_e64 s11, s17, v19
	s_and_b32 s4, s8, s6
	v_lshlrev_b64 v[7:8], 3, v[7:8]
	v_lshlrev_b64 v[5:6], 3, v[5:6]
	s_and_b32 s1, s4, s0
	v_ashrrev_i32_e32 v25, 31, v24
	s_and_b32 s2, s1, s11
	v_ashrrev_i32_e32 v27, 31, v26
	s_delay_alu instid0(VALU_DEP_3) | instskip(NEXT) | instid1(VALU_DEP_3)
	v_add_co_u32 v29, s1, s44, v5
	v_lshlrev_b64 v[24:25], 3, v[24:25]
	v_add_co_ci_u32_e64 v30, s1, s45, v6, s1
	s_delay_alu instid0(VALU_DEP_4) | instskip(NEXT) | instid1(VALU_DEP_3)
	v_lshlrev_b64 v[5:6], 3, v[26:27]
	v_add_co_u32 v24, s1, v29, v24
	s_delay_alu instid0(VALU_DEP_1) | instskip(SKIP_1) | instid1(VALU_DEP_3)
	v_add_co_ci_u32_e64 v25, s1, v30, v25, s1
	v_ashrrev_i32_e32 v29, 31, v28
	v_add_co_u32 v24, s1, v24, v5
	s_delay_alu instid0(VALU_DEP_1) | instskip(NEXT) | instid1(VALU_DEP_3)
	v_add_co_ci_u32_e64 v25, s1, v25, v6, s1
	v_lshlrev_b64 v[5:6], 3, v[28:29]
	s_delay_alu instid0(VALU_DEP_3) | instskip(NEXT) | instid1(VALU_DEP_1)
	v_add_co_u32 v7, s1, v24, v7
	v_add_co_ci_u32_e64 v8, s1, v25, v8, s1
	s_delay_alu instid0(VALU_DEP_3) | instskip(NEXT) | instid1(VALU_DEP_1)
	v_add_co_u32 v5, s1, s48, v5
	v_add_co_ci_u32_e64 v6, s1, s49, v6, s1
	s_delay_alu instid0(VALU_DEP_4) | instskip(NEXT) | instid1(VALU_DEP_1)
	v_add_co_u32 v7, s1, v7, v22
	v_add_co_ci_u32_e64 v8, s1, v8, v23, s1
	s_and_b32 s1, s2, s5
	s_delay_alu instid0(SALU_CYCLE_1) | instskip(NEXT) | instid1(SALU_CYCLE_1)
	s_and_b32 s2, s1, vcc_lo
	s_and_saveexec_b32 s1, s2
	s_cbranch_execz .LBB0_5
; %bb.4:                                ;   in Loop: Header=BB0_3 Depth=1
	global_load_b64 v[3:4], v[5:6], off
	global_load_b64 v[22:23], v[7:8], off
	s_waitcnt vmcnt(0)
	v_fma_f64 v[3:4], v[3:4], v[22:23], 0
.LBB0_5:                                ;   in Loop: Header=BB0_3 Depth=1
	s_or_b32 exec_lo, exec_lo, s1
	v_cmp_lt_i32_e64 s1, -2, v21
	v_add_nc_u32_e32 v22, 1, v21
	s_delay_alu instid0(VALU_DEP_2) | instskip(NEXT) | instid1(VALU_DEP_1)
	s_and_b32 s3, s4, s1
	v_cmp_gt_i32_e64 s2, s19, v22
	s_and_b32 s3, s3, s11
	s_delay_alu instid0(SALU_CYCLE_1)
	s_and_b32 s3, s3, s5
	s_delay_alu instid0(VALU_DEP_1) | instid1(SALU_CYCLE_1)
	s_and_b32 s7, s3, s2
	s_delay_alu instid0(SALU_CYCLE_1)
	s_and_saveexec_b32 s3, s7
	s_cbranch_execz .LBB0_7
; %bb.6:                                ;   in Loop: Header=BB0_3 Depth=1
	global_load_b64 v[22:23], v[5:6], off offset:8
	global_load_b64 v[24:25], v[7:8], off offset:8
	s_waitcnt vmcnt(0)
	v_fma_f64 v[3:4], v[22:23], v[24:25], v[3:4]
.LBB0_7:                                ;   in Loop: Header=BB0_3 Depth=1
	s_or_b32 exec_lo, exec_lo, s3
	v_cmp_lt_i32_e64 s3, -3, v21
	v_add_nc_u32_e32 v21, 2, v21
	s_delay_alu instid0(VALU_DEP_2) | instskip(NEXT) | instid1(VALU_DEP_1)
	s_and_b32 s7, s4, s3
	v_cmp_gt_i32_e64 s4, s19, v21
	s_and_b32 s7, s7, s11
	s_delay_alu instid0(SALU_CYCLE_1)
	s_and_b32 s7, s7, s5
	s_delay_alu instid0(VALU_DEP_1) | instid1(SALU_CYCLE_1)
	s_and_b32 s9, s7, s4
	s_delay_alu instid0(SALU_CYCLE_1)
	s_and_saveexec_b32 s7, s9
	s_cbranch_execz .LBB0_9
; %bb.8:                                ;   in Loop: Header=BB0_3 Depth=1
	global_load_b64 v[21:22], v[5:6], off offset:16
	global_load_b64 v[23:24], v[7:8], off offset:16
	s_waitcnt vmcnt(0)
	v_fma_f64 v[3:4], v[21:22], v[23:24], v[3:4]
.LBB0_9:                                ;   in Loop: Header=BB0_3 Depth=1
	s_or_b32 exec_lo, exec_lo, s7
	v_cmp_lt_i32_e64 s9, -2, v20
	v_add_nc_u32_e32 v21, 1, v20
	s_delay_alu instid0(VALU_DEP_2) | instskip(NEXT) | instid1(VALU_DEP_1)
	s_and_b32 s12, s8, s9
	v_cmp_gt_i32_e64 s7, s18, v21
	s_and_b32 s10, s12, s0
	s_delay_alu instid0(SALU_CYCLE_1) | instskip(SKIP_1) | instid1(VALU_DEP_1)
	s_and_b32 s13, s10, s11
	v_add_co_u32 v7, s10, v7, s50
	v_add_co_ci_u32_e64 v8, s10, s51, v8, s10
	s_and_b32 s10, s13, s7
	s_delay_alu instid0(SALU_CYCLE_1) | instskip(NEXT) | instid1(SALU_CYCLE_1)
	s_and_b32 s13, s10, vcc_lo
	s_and_saveexec_b32 s10, s13
	s_cbranch_execz .LBB0_11
; %bb.10:                               ;   in Loop: Header=BB0_3 Depth=1
	global_load_b64 v[21:22], v[5:6], off offset:24
	global_load_b64 v[23:24], v[7:8], off
	s_waitcnt vmcnt(0)
	v_fma_f64 v[3:4], v[21:22], v[23:24], v[3:4]
.LBB0_11:                               ;   in Loop: Header=BB0_3 Depth=1
	s_or_b32 exec_lo, exec_lo, s10
	s_and_b32 s10, s12, s1
	s_delay_alu instid0(SALU_CYCLE_1) | instskip(NEXT) | instid1(SALU_CYCLE_1)
	s_and_b32 s10, s10, s11
	s_and_b32 s10, s10, s7
	s_delay_alu instid0(SALU_CYCLE_1) | instskip(NEXT) | instid1(SALU_CYCLE_1)
	s_and_b32 s13, s10, s2
	s_and_saveexec_b32 s10, s13
	s_cbranch_execz .LBB0_13
; %bb.12:                               ;   in Loop: Header=BB0_3 Depth=1
	global_load_b64 v[21:22], v[5:6], off offset:32
	global_load_b64 v[23:24], v[7:8], off offset:8
	s_waitcnt vmcnt(0)
	v_fma_f64 v[3:4], v[21:22], v[23:24], v[3:4]
.LBB0_13:                               ;   in Loop: Header=BB0_3 Depth=1
	s_or_b32 exec_lo, exec_lo, s10
	s_and_b32 s10, s12, s3
	s_delay_alu instid0(SALU_CYCLE_1) | instskip(NEXT) | instid1(SALU_CYCLE_1)
	s_and_b32 s10, s10, s11
	s_and_b32 s10, s10, s7
	s_delay_alu instid0(SALU_CYCLE_1) | instskip(NEXT) | instid1(SALU_CYCLE_1)
	s_and_b32 s12, s10, s4
	s_and_saveexec_b32 s10, s12
	s_cbranch_execz .LBB0_15
; %bb.14:                               ;   in Loop: Header=BB0_3 Depth=1
	global_load_b64 v[21:22], v[5:6], off offset:40
	global_load_b64 v[23:24], v[7:8], off offset:16
	s_waitcnt vmcnt(0)
	v_fma_f64 v[3:4], v[21:22], v[23:24], v[3:4]
.LBB0_15:                               ;   in Loop: Header=BB0_3 Depth=1
	s_or_b32 exec_lo, exec_lo, s10
	v_cmp_lt_i32_e64 s10, -3, v20
	v_add_nc_u32_e32 v20, 2, v20
	s_delay_alu instid0(VALU_DEP_2) | instskip(NEXT) | instid1(VALU_DEP_1)
	s_and_b32 s13, s8, s10
	v_cmp_gt_i32_e64 s8, s18, v20
	s_and_b32 s12, s13, s0
	s_delay_alu instid0(SALU_CYCLE_1) | instskip(SKIP_1) | instid1(VALU_DEP_1)
	s_and_b32 s68, s12, s11
	v_add_co_u32 v7, s12, v7, s50
	v_add_co_ci_u32_e64 v8, s12, s51, v8, s12
	s_and_b32 s12, s68, s8
	s_delay_alu instid0(SALU_CYCLE_1) | instskip(NEXT) | instid1(SALU_CYCLE_1)
	s_and_b32 s68, s12, vcc_lo
	s_and_saveexec_b32 s12, s68
	s_cbranch_execz .LBB0_17
; %bb.16:                               ;   in Loop: Header=BB0_3 Depth=1
	global_load_b64 v[20:21], v[5:6], off offset:48
	global_load_b64 v[22:23], v[7:8], off
	s_waitcnt vmcnt(0)
	v_fma_f64 v[3:4], v[20:21], v[22:23], v[3:4]
.LBB0_17:                               ;   in Loop: Header=BB0_3 Depth=1
	s_or_b32 exec_lo, exec_lo, s12
	s_and_b32 s12, s13, s1
	s_delay_alu instid0(SALU_CYCLE_1) | instskip(NEXT) | instid1(SALU_CYCLE_1)
	s_and_b32 s12, s12, s11
	s_and_b32 s12, s12, s8
	s_delay_alu instid0(SALU_CYCLE_1) | instskip(NEXT) | instid1(SALU_CYCLE_1)
	s_and_b32 s68, s12, s2
	s_and_saveexec_b32 s12, s68
	s_cbranch_execz .LBB0_19
; %bb.18:                               ;   in Loop: Header=BB0_3 Depth=1
	global_load_b64 v[20:21], v[5:6], off offset:56
	global_load_b64 v[22:23], v[7:8], off offset:8
	s_waitcnt vmcnt(0)
	v_fma_f64 v[3:4], v[20:21], v[22:23], v[3:4]
.LBB0_19:                               ;   in Loop: Header=BB0_3 Depth=1
	s_or_b32 exec_lo, exec_lo, s12
	s_and_b32 s12, s13, s3
	s_delay_alu instid0(SALU_CYCLE_1) | instskip(NEXT) | instid1(SALU_CYCLE_1)
	s_and_b32 s11, s12, s11
	s_and_b32 s11, s11, s8
	s_delay_alu instid0(SALU_CYCLE_1) | instskip(NEXT) | instid1(SALU_CYCLE_1)
	s_and_b32 s12, s11, s4
	s_and_saveexec_b32 s11, s12
	s_cbranch_execz .LBB0_21
; %bb.20:                               ;   in Loop: Header=BB0_3 Depth=1
	global_load_b64 v[20:21], v[5:6], off offset:64
	global_load_b64 v[22:23], v[7:8], off offset:16
	s_waitcnt vmcnt(0)
	v_fma_f64 v[3:4], v[20:21], v[22:23], v[3:4]
.LBB0_21:                               ;   in Loop: Header=BB0_3 Depth=1
	s_or_b32 exec_lo, exec_lo, s11
	v_add_nc_u32_e32 v20, 1, v19
	v_cmp_lt_i32_e64 s12, -2, v19
	s_add_u32 s13, s52, s50
	s_addc_u32 s69, s53, s51
	v_add_co_u32 v7, s13, s13, v7
	v_cmp_gt_i32_e64 s11, s17, v20
	s_and_b32 s68, s12, s6
	v_add_co_ci_u32_e64 v8, s13, s69, v8, s13
	s_and_b32 s70, s68, s0
	s_delay_alu instid0(VALU_DEP_2) | instid1(SALU_CYCLE_1)
	s_and_b32 s70, s70, s11
	s_delay_alu instid0(SALU_CYCLE_1) | instskip(NEXT) | instid1(SALU_CYCLE_1)
	s_and_b32 s13, s70, s5
	s_and_b32 s69, s13, vcc_lo
	s_delay_alu instid0(SALU_CYCLE_1)
	s_and_saveexec_b32 s13, s69
	s_cbranch_execz .LBB0_23
; %bb.22:                               ;   in Loop: Header=BB0_3 Depth=1
	global_load_b64 v[20:21], v[5:6], off offset:72
	global_load_b64 v[22:23], v[7:8], off
	s_waitcnt vmcnt(0)
	v_fma_f64 v[3:4], v[20:21], v[22:23], v[3:4]
.LBB0_23:                               ;   in Loop: Header=BB0_3 Depth=1
	s_or_b32 exec_lo, exec_lo, s13
	s_and_b32 s13, s68, s1
	s_delay_alu instid0(SALU_CYCLE_1) | instskip(NEXT) | instid1(SALU_CYCLE_1)
	s_and_b32 s13, s13, s11
	s_and_b32 s13, s13, s5
	s_delay_alu instid0(SALU_CYCLE_1) | instskip(NEXT) | instid1(SALU_CYCLE_1)
	s_and_b32 s69, s13, s2
	s_and_saveexec_b32 s13, s69
	s_cbranch_execz .LBB0_25
; %bb.24:                               ;   in Loop: Header=BB0_3 Depth=1
	global_load_b64 v[20:21], v[5:6], off offset:80
	global_load_b64 v[22:23], v[7:8], off offset:8
	s_waitcnt vmcnt(0)
	v_fma_f64 v[3:4], v[20:21], v[22:23], v[3:4]
.LBB0_25:                               ;   in Loop: Header=BB0_3 Depth=1
	s_or_b32 exec_lo, exec_lo, s13
	s_and_b32 s13, s68, s3
	s_delay_alu instid0(SALU_CYCLE_1) | instskip(NEXT) | instid1(SALU_CYCLE_1)
	s_and_b32 s13, s13, s11
	s_and_b32 s13, s13, s5
	s_delay_alu instid0(SALU_CYCLE_1) | instskip(NEXT) | instid1(SALU_CYCLE_1)
	s_and_b32 s68, s13, s4
	s_and_saveexec_b32 s13, s68
	s_cbranch_execz .LBB0_27
; %bb.26:                               ;   in Loop: Header=BB0_3 Depth=1
	global_load_b64 v[20:21], v[5:6], off offset:88
	global_load_b64 v[22:23], v[7:8], off offset:16
	s_waitcnt vmcnt(0)
	v_fma_f64 v[3:4], v[20:21], v[22:23], v[3:4]
.LBB0_27:                               ;   in Loop: Header=BB0_3 Depth=1
	s_or_b32 exec_lo, exec_lo, s13
	s_and_b32 s68, s12, s9
	s_delay_alu instid0(SALU_CYCLE_1) | instskip(NEXT) | instid1(SALU_CYCLE_1)
	s_and_b32 s13, s68, s0
	s_and_b32 s69, s13, s11
	v_add_co_u32 v7, s13, v7, s50
	s_delay_alu instid0(VALU_DEP_1) | instskip(SKIP_1) | instid1(SALU_CYCLE_1)
	v_add_co_ci_u32_e64 v8, s13, s51, v8, s13
	s_and_b32 s13, s69, s7
	s_and_b32 s69, s13, vcc_lo
	s_delay_alu instid0(SALU_CYCLE_1)
	s_and_saveexec_b32 s13, s69
	s_cbranch_execz .LBB0_29
; %bb.28:                               ;   in Loop: Header=BB0_3 Depth=1
	global_load_b64 v[20:21], v[5:6], off offset:96
	global_load_b64 v[22:23], v[7:8], off
	s_waitcnt vmcnt(0)
	v_fma_f64 v[3:4], v[20:21], v[22:23], v[3:4]
.LBB0_29:                               ;   in Loop: Header=BB0_3 Depth=1
	s_or_b32 exec_lo, exec_lo, s13
	s_and_b32 s13, s68, s1
	s_delay_alu instid0(SALU_CYCLE_1) | instskip(NEXT) | instid1(SALU_CYCLE_1)
	s_and_b32 s13, s13, s11
	s_and_b32 s13, s13, s7
	s_delay_alu instid0(SALU_CYCLE_1) | instskip(NEXT) | instid1(SALU_CYCLE_1)
	s_and_b32 s69, s13, s2
	s_and_saveexec_b32 s13, s69
	s_cbranch_execz .LBB0_31
; %bb.30:                               ;   in Loop: Header=BB0_3 Depth=1
	global_load_b64 v[20:21], v[5:6], off offset:104
	global_load_b64 v[22:23], v[7:8], off offset:8
	s_waitcnt vmcnt(0)
	v_fma_f64 v[3:4], v[20:21], v[22:23], v[3:4]
.LBB0_31:                               ;   in Loop: Header=BB0_3 Depth=1
	s_or_b32 exec_lo, exec_lo, s13
	s_and_b32 s13, s68, s3
	s_delay_alu instid0(SALU_CYCLE_1) | instskip(NEXT) | instid1(SALU_CYCLE_1)
	s_and_b32 s13, s13, s11
	s_and_b32 s13, s13, s7
	s_delay_alu instid0(SALU_CYCLE_1) | instskip(NEXT) | instid1(SALU_CYCLE_1)
	s_and_b32 s68, s13, s4
	s_and_saveexec_b32 s13, s68
	s_cbranch_execz .LBB0_33
; %bb.32:                               ;   in Loop: Header=BB0_3 Depth=1
	global_load_b64 v[20:21], v[5:6], off offset:112
	global_load_b64 v[22:23], v[7:8], off offset:16
	s_waitcnt vmcnt(0)
	v_fma_f64 v[3:4], v[20:21], v[22:23], v[3:4]
.LBB0_33:                               ;   in Loop: Header=BB0_3 Depth=1
	s_or_b32 exec_lo, exec_lo, s13
	s_and_b32 s13, s12, s10
	s_delay_alu instid0(SALU_CYCLE_1) | instskip(NEXT) | instid1(SALU_CYCLE_1)
	s_and_b32 s12, s13, s0
	s_and_b32 s68, s12, s11
	v_add_co_u32 v7, s12, v7, s50
	s_delay_alu instid0(VALU_DEP_1) | instskip(SKIP_1) | instid1(SALU_CYCLE_1)
	v_add_co_ci_u32_e64 v8, s12, s51, v8, s12
	s_and_b32 s12, s68, s8
	s_and_b32 s68, s12, vcc_lo
	s_delay_alu instid0(SALU_CYCLE_1)
	s_and_saveexec_b32 s12, s68
	s_cbranch_execz .LBB0_35
; %bb.34:                               ;   in Loop: Header=BB0_3 Depth=1
	global_load_b64 v[20:21], v[5:6], off offset:120
	global_load_b64 v[22:23], v[7:8], off
	s_waitcnt vmcnt(0)
	v_fma_f64 v[3:4], v[20:21], v[22:23], v[3:4]
.LBB0_35:                               ;   in Loop: Header=BB0_3 Depth=1
	s_or_b32 exec_lo, exec_lo, s12
	s_and_b32 s12, s13, s1
	s_delay_alu instid0(SALU_CYCLE_1) | instskip(NEXT) | instid1(SALU_CYCLE_1)
	s_and_b32 s12, s12, s11
	s_and_b32 s12, s12, s8
	s_delay_alu instid0(SALU_CYCLE_1) | instskip(NEXT) | instid1(SALU_CYCLE_1)
	s_and_b32 s68, s12, s2
	s_and_saveexec_b32 s12, s68
	s_cbranch_execz .LBB0_37
; %bb.36:                               ;   in Loop: Header=BB0_3 Depth=1
	global_load_b64 v[20:21], v[5:6], off offset:128
	global_load_b64 v[22:23], v[7:8], off offset:8
	s_waitcnt vmcnt(0)
	v_fma_f64 v[3:4], v[20:21], v[22:23], v[3:4]
.LBB0_37:                               ;   in Loop: Header=BB0_3 Depth=1
	s_or_b32 exec_lo, exec_lo, s12
	s_and_b32 s12, s13, s3
	s_delay_alu instid0(SALU_CYCLE_1) | instskip(NEXT) | instid1(SALU_CYCLE_1)
	s_and_b32 s11, s12, s11
	s_and_b32 s11, s11, s8
	s_delay_alu instid0(SALU_CYCLE_1) | instskip(NEXT) | instid1(SALU_CYCLE_1)
	s_and_b32 s12, s11, s4
	s_and_saveexec_b32 s11, s12
	s_cbranch_execz .LBB0_39
; %bb.38:                               ;   in Loop: Header=BB0_3 Depth=1
	global_load_b64 v[20:21], v[5:6], off offset:136
	global_load_b64 v[22:23], v[7:8], off offset:16
	s_waitcnt vmcnt(0)
	v_fma_f64 v[3:4], v[20:21], v[22:23], v[3:4]
.LBB0_39:                               ;   in Loop: Header=BB0_3 Depth=1
	s_or_b32 exec_lo, exec_lo, s11
	v_add_nc_u32_e32 v20, 2, v19
	v_cmp_lt_i32_e64 s12, -3, v19
	s_add_u32 s68, s52, s50
	s_addc_u32 s69, s53, s51
	s_delay_alu instid0(VALU_DEP_2) | instskip(NEXT) | instid1(VALU_DEP_2)
	v_cmp_gt_i32_e64 s11, s17, v20
	s_and_b32 s13, s12, s6
	s_delay_alu instid0(SALU_CYCLE_1)
	s_and_b32 s6, s13, s0
	s_delay_alu instid0(VALU_DEP_1) | instid1(SALU_CYCLE_1)
	s_and_b32 s70, s6, s11
	v_add_co_u32 v7, s6, s68, v7
	s_delay_alu instid0(VALU_DEP_1) | instskip(SKIP_1) | instid1(SALU_CYCLE_1)
	v_add_co_ci_u32_e64 v8, s6, s69, v8, s6
	s_and_b32 s6, s70, s5
	s_and_b32 s68, s6, vcc_lo
	s_delay_alu instid0(SALU_CYCLE_1)
	s_and_saveexec_b32 s6, s68
	s_cbranch_execz .LBB0_41
; %bb.40:                               ;   in Loop: Header=BB0_3 Depth=1
	global_load_b64 v[19:20], v[5:6], off offset:144
	global_load_b64 v[21:22], v[7:8], off
	s_waitcnt vmcnt(0)
	v_fma_f64 v[3:4], v[19:20], v[21:22], v[3:4]
.LBB0_41:                               ;   in Loop: Header=BB0_3 Depth=1
	s_or_b32 exec_lo, exec_lo, s6
	s_and_b32 s6, s13, s1
	s_delay_alu instid0(SALU_CYCLE_1) | instskip(NEXT) | instid1(SALU_CYCLE_1)
	s_and_b32 s6, s6, s11
	s_and_b32 s6, s6, s5
	s_delay_alu instid0(SALU_CYCLE_1) | instskip(NEXT) | instid1(SALU_CYCLE_1)
	s_and_b32 s68, s6, s2
	s_and_saveexec_b32 s6, s68
	s_cbranch_execz .LBB0_43
; %bb.42:                               ;   in Loop: Header=BB0_3 Depth=1
	global_load_b64 v[19:20], v[5:6], off offset:152
	global_load_b64 v[21:22], v[7:8], off offset:8
	s_waitcnt vmcnt(0)
	v_fma_f64 v[3:4], v[19:20], v[21:22], v[3:4]
.LBB0_43:                               ;   in Loop: Header=BB0_3 Depth=1
	s_or_b32 exec_lo, exec_lo, s6
	s_and_b32 s6, s13, s3
	s_delay_alu instid0(SALU_CYCLE_1) | instskip(NEXT) | instid1(SALU_CYCLE_1)
	s_and_b32 s6, s6, s11
	s_and_b32 s5, s6, s5
	s_delay_alu instid0(SALU_CYCLE_1) | instskip(NEXT) | instid1(SALU_CYCLE_1)
	s_and_b32 s6, s5, s4
	s_and_saveexec_b32 s5, s6
	s_cbranch_execz .LBB0_45
; %bb.44:                               ;   in Loop: Header=BB0_3 Depth=1
	global_load_b64 v[19:20], v[5:6], off offset:160
	global_load_b64 v[21:22], v[7:8], off offset:16
	s_waitcnt vmcnt(0)
	v_fma_f64 v[3:4], v[19:20], v[21:22], v[3:4]
.LBB0_45:                               ;   in Loop: Header=BB0_3 Depth=1
	s_or_b32 exec_lo, exec_lo, s5
	s_and_b32 s6, s12, s9
	s_delay_alu instid0(SALU_CYCLE_1) | instskip(NEXT) | instid1(SALU_CYCLE_1)
	s_and_b32 s5, s6, s0
	s_and_b32 s9, s5, s11
	v_add_co_u32 v7, s5, v7, s50
	s_delay_alu instid0(VALU_DEP_1) | instskip(SKIP_1) | instid1(SALU_CYCLE_1)
	v_add_co_ci_u32_e64 v8, s5, s51, v8, s5
	s_and_b32 s5, s9, s7
	s_and_b32 s9, s5, vcc_lo
	s_delay_alu instid0(SALU_CYCLE_1)
	s_and_saveexec_b32 s5, s9
	s_cbranch_execz .LBB0_47
; %bb.46:                               ;   in Loop: Header=BB0_3 Depth=1
	global_load_b64 v[19:20], v[5:6], off offset:168
	global_load_b64 v[21:22], v[7:8], off
	s_waitcnt vmcnt(0)
	v_fma_f64 v[3:4], v[19:20], v[21:22], v[3:4]
.LBB0_47:                               ;   in Loop: Header=BB0_3 Depth=1
	s_or_b32 exec_lo, exec_lo, s5
	s_and_b32 s5, s6, s1
	s_delay_alu instid0(SALU_CYCLE_1) | instskip(NEXT) | instid1(SALU_CYCLE_1)
	s_and_b32 s5, s5, s11
	s_and_b32 s5, s5, s7
	s_delay_alu instid0(SALU_CYCLE_1) | instskip(NEXT) | instid1(SALU_CYCLE_1)
	s_and_b32 s9, s5, s2
	s_and_saveexec_b32 s5, s9
	s_cbranch_execz .LBB0_49
; %bb.48:                               ;   in Loop: Header=BB0_3 Depth=1
	global_load_b64 v[19:20], v[5:6], off offset:176
	global_load_b64 v[21:22], v[7:8], off offset:8
	s_waitcnt vmcnt(0)
	v_fma_f64 v[3:4], v[19:20], v[21:22], v[3:4]
.LBB0_49:                               ;   in Loop: Header=BB0_3 Depth=1
	s_or_b32 exec_lo, exec_lo, s5
	s_and_b32 s5, s6, s3
	s_delay_alu instid0(SALU_CYCLE_1) | instskip(NEXT) | instid1(SALU_CYCLE_1)
	s_and_b32 s5, s5, s11
	s_and_b32 s5, s5, s7
	s_delay_alu instid0(SALU_CYCLE_1) | instskip(NEXT) | instid1(SALU_CYCLE_1)
	s_and_b32 s6, s5, s4
	s_and_saveexec_b32 s5, s6
	s_cbranch_execz .LBB0_51
; %bb.50:                               ;   in Loop: Header=BB0_3 Depth=1
	global_load_b64 v[19:20], v[5:6], off offset:184
	global_load_b64 v[21:22], v[7:8], off offset:16
	s_waitcnt vmcnt(0)
	v_fma_f64 v[3:4], v[19:20], v[21:22], v[3:4]
.LBB0_51:                               ;   in Loop: Header=BB0_3 Depth=1
	s_or_b32 exec_lo, exec_lo, s5
	s_and_b32 s5, s12, s10
	s_delay_alu instid0(SALU_CYCLE_1) | instskip(NEXT) | instid1(SALU_CYCLE_1)
	s_and_b32 s0, s5, s0
	s_and_b32 s6, s0, s11
	v_add_co_u32 v7, s0, v7, s50
	s_delay_alu instid0(VALU_DEP_1) | instskip(SKIP_1) | instid1(SALU_CYCLE_1)
	v_add_co_ci_u32_e64 v8, s0, s51, v8, s0
	s_and_b32 s0, s6, s8
	s_and_b32 s6, s0, vcc_lo
	s_delay_alu instid0(SALU_CYCLE_1)
	s_and_saveexec_b32 s0, s6
	s_cbranch_execz .LBB0_53
; %bb.52:                               ;   in Loop: Header=BB0_3 Depth=1
	global_load_b64 v[19:20], v[5:6], off offset:192
	global_load_b64 v[21:22], v[7:8], off
	s_waitcnt vmcnt(0)
	v_fma_f64 v[3:4], v[19:20], v[21:22], v[3:4]
.LBB0_53:                               ;   in Loop: Header=BB0_3 Depth=1
	s_or_b32 exec_lo, exec_lo, s0
	s_and_b32 s0, s5, s1
	s_delay_alu instid0(SALU_CYCLE_1) | instskip(NEXT) | instid1(SALU_CYCLE_1)
	s_and_b32 s0, s0, s11
	s_and_b32 s0, s0, s8
	s_delay_alu instid0(SALU_CYCLE_1) | instskip(NEXT) | instid1(SALU_CYCLE_1)
	s_and_b32 s1, s0, s2
	s_and_saveexec_b32 s0, s1
	s_cbranch_execz .LBB0_55
; %bb.54:                               ;   in Loop: Header=BB0_3 Depth=1
	global_load_b64 v[19:20], v[5:6], off offset:200
	global_load_b64 v[21:22], v[7:8], off offset:8
	s_waitcnt vmcnt(0)
	v_fma_f64 v[3:4], v[19:20], v[21:22], v[3:4]
.LBB0_55:                               ;   in Loop: Header=BB0_3 Depth=1
	s_or_b32 exec_lo, exec_lo, s0
	s_and_b32 s0, s5, s3
	s_delay_alu instid0(SALU_CYCLE_1) | instskip(NEXT) | instid1(SALU_CYCLE_1)
	s_and_b32 s0, s0, s11
	s_and_b32 s0, s0, s8
	s_delay_alu instid0(SALU_CYCLE_1) | instskip(NEXT) | instid1(SALU_CYCLE_1)
	s_and_b32 s1, s0, s4
	s_and_saveexec_b32 s0, s1
	s_cbranch_execz .LBB0_57
; %bb.56:                               ;   in Loop: Header=BB0_3 Depth=1
	global_load_b64 v[5:6], v[5:6], off offset:208
	global_load_b64 v[7:8], v[7:8], off offset:16
	s_waitcnt vmcnt(0)
	v_fma_f64 v[3:4], v[5:6], v[7:8], v[3:4]
.LBB0_57:                               ;   in Loop: Header=BB0_3 Depth=1
	s_or_b32 exec_lo, exec_lo, s0
	s_delay_alu instid0(SALU_CYCLE_1)
	s_and_not1_b32 vcc_lo, exec_lo, s56
	s_cbranch_vccnz .LBB0_2
; %bb.58:                               ;   in Loop: Header=BB0_3 Depth=1
	v_lshlrev_b64 v[5:6], 3, v[1:2]
	s_delay_alu instid0(VALU_DEP_1) | instskip(NEXT) | instid1(VALU_DEP_2)
	v_add_co_u32 v5, vcc_lo, s40, v5
	v_add_co_ci_u32_e32 v6, vcc_lo, s41, v6, vcc_lo
	global_load_b64 v[5:6], v[5:6], off
	s_waitcnt vmcnt(0)
	v_add_f64 v[3:4], v[3:4], v[5:6]
	s_branch .LBB0_2
.LBB0_59:
	s_nop 0
	s_sendmsg sendmsg(MSG_DEALLOC_VGPRS)
	s_endpgm
	.section	.rodata,"a",@progbits
	.p2align	6, 0x0
	.amdhsa_kernel _ZN2at6native12_GLOBAL__N_128conv_depthwise3d_cuda_kernelIddLi3ELi3ELi3ELi1ELi1ELi1EEEvN5torch10headeronly6detail27GenericPackedTensorAccessorINS5_14TensorAccessorIN3c108ArrayRefIlEEKT_Lm4ENS4_16DefaultPtrTraitsEiEENS_6detail16IndexBoundsCheckILm5EiEESC_Lm5ESD_iEENS6_INS7_ISA_SB_Lm4ESD_iEESH_SB_Lm5ESD_iEESI_PSC_iiiiiiiii
		.amdhsa_group_segment_fixed_size 0
		.amdhsa_private_segment_fixed_size 0
		.amdhsa_kernarg_size 448
		.amdhsa_user_sgpr_count 15
		.amdhsa_user_sgpr_dispatch_ptr 0
		.amdhsa_user_sgpr_queue_ptr 0
		.amdhsa_user_sgpr_kernarg_segment_ptr 1
		.amdhsa_user_sgpr_dispatch_id 0
		.amdhsa_user_sgpr_private_segment_size 0
		.amdhsa_wavefront_size32 1
		.amdhsa_uses_dynamic_stack 0
		.amdhsa_enable_private_segment 0
		.amdhsa_system_sgpr_workgroup_id_x 1
		.amdhsa_system_sgpr_workgroup_id_y 0
		.amdhsa_system_sgpr_workgroup_id_z 0
		.amdhsa_system_sgpr_workgroup_info 0
		.amdhsa_system_vgpr_workitem_id 0
		.amdhsa_next_free_vgpr 31
		.amdhsa_next_free_sgpr 71
		.amdhsa_reserve_vcc 1
		.amdhsa_float_round_mode_32 0
		.amdhsa_float_round_mode_16_64 0
		.amdhsa_float_denorm_mode_32 3
		.amdhsa_float_denorm_mode_16_64 3
		.amdhsa_dx10_clamp 1
		.amdhsa_ieee_mode 1
		.amdhsa_fp16_overflow 0
		.amdhsa_workgroup_processor_mode 1
		.amdhsa_memory_ordered 1
		.amdhsa_forward_progress 0
		.amdhsa_shared_vgpr_count 0
		.amdhsa_exception_fp_ieee_invalid_op 0
		.amdhsa_exception_fp_denorm_src 0
		.amdhsa_exception_fp_ieee_div_zero 0
		.amdhsa_exception_fp_ieee_overflow 0
		.amdhsa_exception_fp_ieee_underflow 0
		.amdhsa_exception_fp_ieee_inexact 0
		.amdhsa_exception_int_div_zero 0
	.end_amdhsa_kernel
	.section	.text._ZN2at6native12_GLOBAL__N_128conv_depthwise3d_cuda_kernelIddLi3ELi3ELi3ELi1ELi1ELi1EEEvN5torch10headeronly6detail27GenericPackedTensorAccessorINS5_14TensorAccessorIN3c108ArrayRefIlEEKT_Lm4ENS4_16DefaultPtrTraitsEiEENS_6detail16IndexBoundsCheckILm5EiEESC_Lm5ESD_iEENS6_INS7_ISA_SB_Lm4ESD_iEESH_SB_Lm5ESD_iEESI_PSC_iiiiiiiii,"axG",@progbits,_ZN2at6native12_GLOBAL__N_128conv_depthwise3d_cuda_kernelIddLi3ELi3ELi3ELi1ELi1ELi1EEEvN5torch10headeronly6detail27GenericPackedTensorAccessorINS5_14TensorAccessorIN3c108ArrayRefIlEEKT_Lm4ENS4_16DefaultPtrTraitsEiEENS_6detail16IndexBoundsCheckILm5EiEESC_Lm5ESD_iEENS6_INS7_ISA_SB_Lm4ESD_iEESH_SB_Lm5ESD_iEESI_PSC_iiiiiiiii,comdat
.Lfunc_end0:
	.size	_ZN2at6native12_GLOBAL__N_128conv_depthwise3d_cuda_kernelIddLi3ELi3ELi3ELi1ELi1ELi1EEEvN5torch10headeronly6detail27GenericPackedTensorAccessorINS5_14TensorAccessorIN3c108ArrayRefIlEEKT_Lm4ENS4_16DefaultPtrTraitsEiEENS_6detail16IndexBoundsCheckILm5EiEESC_Lm5ESD_iEENS6_INS7_ISA_SB_Lm4ESD_iEESH_SB_Lm5ESD_iEESI_PSC_iiiiiiiii, .Lfunc_end0-_ZN2at6native12_GLOBAL__N_128conv_depthwise3d_cuda_kernelIddLi3ELi3ELi3ELi1ELi1ELi1EEEvN5torch10headeronly6detail27GenericPackedTensorAccessorINS5_14TensorAccessorIN3c108ArrayRefIlEEKT_Lm4ENS4_16DefaultPtrTraitsEiEENS_6detail16IndexBoundsCheckILm5EiEESC_Lm5ESD_iEENS6_INS7_ISA_SB_Lm4ESD_iEESH_SB_Lm5ESD_iEESI_PSC_iiiiiiiii
                                        ; -- End function
	.section	.AMDGPU.csdata,"",@progbits
; Kernel info:
; codeLenInByte = 3960
; NumSgprs: 73
; NumVgprs: 31
; ScratchSize: 0
; MemoryBound: 1
; FloatMode: 240
; IeeeMode: 1
; LDSByteSize: 0 bytes/workgroup (compile time only)
; SGPRBlocks: 9
; VGPRBlocks: 3
; NumSGPRsForWavesPerEU: 73
; NumVGPRsForWavesPerEU: 31
; Occupancy: 16
; WaveLimiterHint : 0
; COMPUTE_PGM_RSRC2:SCRATCH_EN: 0
; COMPUTE_PGM_RSRC2:USER_SGPR: 15
; COMPUTE_PGM_RSRC2:TRAP_HANDLER: 0
; COMPUTE_PGM_RSRC2:TGID_X_EN: 1
; COMPUTE_PGM_RSRC2:TGID_Y_EN: 0
; COMPUTE_PGM_RSRC2:TGID_Z_EN: 0
; COMPUTE_PGM_RSRC2:TIDIG_COMP_CNT: 0
	.section	.text._ZN2at6native12_GLOBAL__N_128conv_depthwise3d_cuda_kernelIddLin1ELin1ELin1ELi1ELi1ELi1EEEvN5torch10headeronly6detail27GenericPackedTensorAccessorINS5_14TensorAccessorIN3c108ArrayRefIlEEKT_Lm4ENS4_16DefaultPtrTraitsEiEENS_6detail16IndexBoundsCheckILm5EiEESC_Lm5ESD_iEENS6_INS7_ISA_SB_Lm4ESD_iEESH_SB_Lm5ESD_iEESI_PSC_iiiiiiiii,"axG",@progbits,_ZN2at6native12_GLOBAL__N_128conv_depthwise3d_cuda_kernelIddLin1ELin1ELin1ELi1ELi1ELi1EEEvN5torch10headeronly6detail27GenericPackedTensorAccessorINS5_14TensorAccessorIN3c108ArrayRefIlEEKT_Lm4ENS4_16DefaultPtrTraitsEiEENS_6detail16IndexBoundsCheckILm5EiEESC_Lm5ESD_iEENS6_INS7_ISA_SB_Lm4ESD_iEESH_SB_Lm5ESD_iEESI_PSC_iiiiiiiii,comdat
	.globl	_ZN2at6native12_GLOBAL__N_128conv_depthwise3d_cuda_kernelIddLin1ELin1ELin1ELi1ELi1ELi1EEEvN5torch10headeronly6detail27GenericPackedTensorAccessorINS5_14TensorAccessorIN3c108ArrayRefIlEEKT_Lm4ENS4_16DefaultPtrTraitsEiEENS_6detail16IndexBoundsCheckILm5EiEESC_Lm5ESD_iEENS6_INS7_ISA_SB_Lm4ESD_iEESH_SB_Lm5ESD_iEESI_PSC_iiiiiiiii ; -- Begin function _ZN2at6native12_GLOBAL__N_128conv_depthwise3d_cuda_kernelIddLin1ELin1ELin1ELi1ELi1ELi1EEEvN5torch10headeronly6detail27GenericPackedTensorAccessorINS5_14TensorAccessorIN3c108ArrayRefIlEEKT_Lm4ENS4_16DefaultPtrTraitsEiEENS_6detail16IndexBoundsCheckILm5EiEESC_Lm5ESD_iEENS6_INS7_ISA_SB_Lm4ESD_iEESH_SB_Lm5ESD_iEESI_PSC_iiiiiiiii
	.p2align	8
	.type	_ZN2at6native12_GLOBAL__N_128conv_depthwise3d_cuda_kernelIddLin1ELin1ELin1ELi1ELi1ELi1EEEvN5torch10headeronly6detail27GenericPackedTensorAccessorINS5_14TensorAccessorIN3c108ArrayRefIlEEKT_Lm4ENS4_16DefaultPtrTraitsEiEENS_6detail16IndexBoundsCheckILm5EiEESC_Lm5ESD_iEENS6_INS7_ISA_SB_Lm4ESD_iEESH_SB_Lm5ESD_iEESI_PSC_iiiiiiiii,@function
_ZN2at6native12_GLOBAL__N_128conv_depthwise3d_cuda_kernelIddLin1ELin1ELin1ELi1ELi1ELi1EEEvN5torch10headeronly6detail27GenericPackedTensorAccessorINS5_14TensorAccessorIN3c108ArrayRefIlEEKT_Lm4ENS4_16DefaultPtrTraitsEiEENS_6detail16IndexBoundsCheckILm5EiEESC_Lm5ESD_iEENS6_INS7_ISA_SB_Lm4ESD_iEESH_SB_Lm5ESD_iEESI_PSC_iiiiiiiii: ; @_ZN2at6native12_GLOBAL__N_128conv_depthwise3d_cuda_kernelIddLin1ELin1ELin1ELi1ELi1ELi1EEEvN5torch10headeronly6detail27GenericPackedTensorAccessorINS5_14TensorAccessorIN3c108ArrayRefIlEEKT_Lm4ENS4_16DefaultPtrTraitsEiEENS_6detail16IndexBoundsCheckILm5EiEESC_Lm5ESD_iEENS6_INS7_ISA_SB_Lm4ESD_iEESH_SB_Lm5ESD_iEESI_PSC_iiiiiiiii
; %bb.0:
	s_clause 0x3
	s_load_b128 s[4:7], s[0:1], 0xc
	s_load_b32 s12, s[0:1], 0xcc
	s_load_b128 s[8:11], s[0:1], 0x38
	s_load_b64 s[28:29], s[0:1], 0x48
	s_waitcnt lgkmcnt(0)
	s_abs_i32 s16, s4
	s_add_u32 s2, s0, 0xc0
	v_cvt_f32_u32_e32 v1, s16
	s_addc_u32 s3, s1, 0
	s_and_b32 s56, s12, 0xffff
	s_mul_i32 s30, s29, s8
	s_mov_b32 s8, exec_lo
	v_rcp_iflag_f32_e32 v2, v1
	v_mov_b32_e32 v1, 0
	s_ashr_i32 s31, s30, 31
	s_waitcnt_depctr 0xfff
	v_mul_f32_e32 v4, 0x4f7ffffe, v2
	v_mad_u64_u32 v[2:3], null, s56, s15, v[0:1]
	s_delay_alu instid0(VALU_DEP_2) | instskip(NEXT) | instid1(VALU_DEP_1)
	v_cvt_u32_f32_e32 v0, v4
	v_readfirstlane_b32 s12, v0
	s_delay_alu instid0(VALU_DEP_3)
	v_cmpx_gt_i64_e64 s[30:31], v[2:3]
	s_cbranch_execz .LBB1_17
; %bb.1:
	s_sub_i32 s8, 0, s16
	s_abs_i32 s33, s9
	s_mul_i32 s13, s8, s12
	s_ashr_i32 s8, s9, 31
	s_mul_hi_u32 s13, s12, s13
	s_ashr_i32 s4, s4, 31
	s_add_i32 s17, s12, s13
	s_clause 0x1
	s_load_b128 s[12:15], s[0:1], 0x70
	s_load_b64 s[34:35], s[0:1], 0x90
	s_waitcnt lgkmcnt(0)
	s_mul_hi_u32 s15, s33, s17
	s_xor_b32 s18, s8, s4
	s_mul_i32 s17, s15, s16
	v_cvt_f32_u32_e32 v0, s33
	s_sub_i32 s4, s33, s17
	s_add_i32 s17, s15, 1
	s_sub_i32 s19, s4, s16
	s_cmp_ge_u32 s4, s16
	v_rcp_iflag_f32_e32 v0, v0
	s_cselect_b32 s15, s17, s15
	s_cselect_b32 s4, s19, s4
	s_add_i32 s17, s15, 1
	s_cmp_ge_u32 s4, s16
	s_load_b32 s2, s[2:3], 0x0
	s_cselect_b32 s4, s17, s15
	s_load_b64 s[36:37], s[0:1], 0xa8
	s_xor_b32 s15, s4, s18
	s_load_b32 s4, s[0:1], 0x7c
	s_sub_i32 s60, s15, s18
	s_load_b128 s[16:19], s[0:1], 0x98
	s_cmp_gt_i32 s12, 0
	s_mov_b32 s48, 0
	s_cselect_b32 s15, -1, 0
	s_cmp_gt_i32 s13, 0
	s_cselect_b32 s49, -1, 0
	s_cmp_gt_i32 s14, 0
	s_cselect_b32 s50, -1, 0
	s_sub_i32 s20, s6, s13
	s_sub_i32 s44, s7, s14
	s_mul_i32 s46, s7, s20
	s_ashr_i32 s45, s44, 31
	s_ashr_i32 s47, s46, 31
	s_cmp_lg_u64 s[34:35], 0
	s_clause 0x1
	s_load_b64 s[38:39], s[0:1], 0x0
	s_load_b128 s[20:23], s[0:1], 0x1c
	s_cselect_b32 s51, -1, 0
	s_abs_i32 s52, s28
	s_abs_i32 s53, s11
	v_cvt_f32_u32_e32 v1, s52
	v_cvt_f32_u32_e32 v4, s53
	s_abs_i32 s54, s10
	s_abs_i32 s55, s60
	v_cvt_f32_u32_e32 v5, s54
	v_rcp_iflag_f32_e32 v1, v1
	v_rcp_iflag_f32_e32 v4, v4
	v_cvt_f32_u32_e32 v6, s55
	s_sub_i32 s25, 0, s53
	v_rcp_iflag_f32_e32 v5, v5
	v_mul_f32_e32 v0, 0x4f7ffffe, v0
	s_sub_i32 s24, 0, s52
	v_rcp_iflag_f32_e32 v6, v6
	s_clause 0x1
	s_load_b32 s3, s[0:1], 0x2c
	s_load_b64 s[40:41], s[0:1], 0x30
	s_waitcnt lgkmcnt(0)
	s_mul_i32 s56, s2, s56
	v_dual_mul_f32 v1, 0x4f7ffffe, v1 :: v_dual_mul_f32 v4, 0x4f7ffffe, v4
	s_ashr_i32 s57, s28, 31
	s_ashr_i32 s58, s11, 31
	s_waitcnt_depctr 0xfff
	v_mul_f32_e32 v5, 0x4f7ffffe, v5
	v_cvt_u32_f32_e32 v1, v1
	v_cvt_u32_f32_e32 v4, v4
	;; [unrolled: 1-line block ×3, first 2 shown]
	s_ashr_i32 s59, s10, 31
	v_cvt_u32_f32_e32 v5, v5
	v_mul_lo_u32 v7, s24, v1
	v_mul_lo_u32 v8, s25, v4
	s_sub_i32 s24, 0, s54
	s_sub_i32 s25, 0, s55
	v_mul_lo_u32 v9, s24, v5
	s_sub_i32 s24, 0, s33
	s_ashr_i32 s60, s60, 31
	v_mul_lo_u32 v10, s24, v0
	v_mul_hi_u32 v7, v1, v7
	v_mul_hi_u32 v8, v4, v8
	v_mul_f32_e32 v6, 0x4f7ffffe, v6
	s_lshl_b64 s[44:45], s[44:45], 3
	v_mul_hi_u32 v9, v5, v9
	s_lshl_b64 s[46:47], s[46:47], 3
	s_delay_alu instid0(VALU_DEP_2) | instskip(SKIP_2) | instid1(VALU_DEP_3)
	v_cvt_u32_f32_e32 v6, v6
	v_mul_hi_u32 v13, v0, v10
	v_add_nc_u32_e32 v10, v1, v7
	v_mul_lo_u32 v11, s25, v6
	s_clause 0x1
	s_load_b64 s[42:43], s[0:1], 0x60
	s_load_b128 s[24:27], s[0:1], 0x50
	v_add_nc_u32_e32 v12, v5, v9
	s_delay_alu instid0(VALU_DEP_4) | instskip(NEXT) | instid1(VALU_DEP_3)
	v_add_nc_u32_e32 v13, v0, v13
	v_mul_hi_u32 v14, v6, v11
	v_add_nc_u32_e32 v11, v4, v8
	s_delay_alu instid0(VALU_DEP_2)
	v_add_nc_u32_e32 v14, v6, v14
	s_branch .LBB1_3
.LBB1_2:                                ;   in Loop: Header=BB1_3 Depth=1
	v_mul_lo_u32 v6, v18, s29
	s_waitcnt lgkmcnt(0)
	v_mul_lo_u32 v0, s24, v0
	v_mul_lo_u32 v8, s25, v17
	;; [unrolled: 1-line block ×3, first 2 shown]
	v_add_co_u32 v2, vcc_lo, v2, s56
	v_add_co_ci_u32_e32 v3, vcc_lo, 0, v3, vcc_lo
	v_ashrrev_i32_e32 v7, 31, v6
	v_ashrrev_i32_e32 v1, 31, v0
	;; [unrolled: 1-line block ×3, first 2 shown]
	v_mul_lo_u32 v18, s27, v15
	v_ashrrev_i32_e32 v17, 31, v16
	v_lshlrev_b64 v[6:7], 3, v[6:7]
	v_lshlrev_b64 v[0:1], 3, v[0:1]
	s_delay_alu instid0(VALU_DEP_4) | instskip(NEXT) | instid1(VALU_DEP_3)
	v_ashrrev_i32_e32 v19, 31, v18
	v_add_co_u32 v15, vcc_lo, s40, v6
	s_delay_alu instid0(VALU_DEP_4) | instskip(SKIP_1) | instid1(VALU_DEP_3)
	v_add_co_ci_u32_e32 v20, vcc_lo, s41, v7, vcc_lo
	v_lshlrev_b64 v[6:7], 3, v[8:9]
	v_add_co_u32 v8, vcc_lo, v15, v0
	s_delay_alu instid0(VALU_DEP_3) | instskip(SKIP_1) | instid1(VALU_DEP_3)
	v_add_co_ci_u32_e32 v9, vcc_lo, v20, v1, vcc_lo
	v_lshlrev_b64 v[0:1], 3, v[16:17]
	v_add_co_u32 v8, vcc_lo, v8, v6
	s_delay_alu instid0(VALU_DEP_3) | instskip(SKIP_1) | instid1(VALU_DEP_3)
	;; [unrolled: 4-line block ×3, first 2 shown]
	v_add_co_ci_u32_e32 v1, vcc_lo, v9, v1, vcc_lo
	v_cmp_le_i64_e32 vcc_lo, s[30:31], v[2:3]
	v_add_co_u32 v0, s0, v0, v6
	s_delay_alu instid0(VALU_DEP_1)
	v_add_co_ci_u32_e64 v1, s0, v1, v7, s0
	s_or_b32 s48, vcc_lo, s48
	global_store_b64 v[0:1], v[4:5], off
	s_and_not1_b32 exec_lo, exec_lo, s48
	s_cbranch_execz .LBB1_17
.LBB1_3:                                ; =>This Loop Header: Depth=1
                                        ;     Child Loop BB1_6 Depth 2
                                        ;       Child Loop BB1_9 Depth 3
                                        ;         Child Loop BB1_12 Depth 4
	v_sub_nc_u32_e32 v0, 0, v2
	s_delay_alu instid0(VALU_DEP_1) | instskip(NEXT) | instid1(VALU_DEP_1)
	v_max_i32_e32 v0, v2, v0
	v_mul_hi_u32 v1, v0, v10
	s_delay_alu instid0(VALU_DEP_1) | instskip(NEXT) | instid1(VALU_DEP_1)
	v_mul_lo_u32 v4, v1, s52
	v_sub_nc_u32_e32 v0, v0, v4
	v_add_nc_u32_e32 v4, 1, v1
	s_delay_alu instid0(VALU_DEP_2) | instskip(SKIP_1) | instid1(VALU_DEP_2)
	v_subrev_nc_u32_e32 v5, s52, v0
	v_cmp_le_u32_e32 vcc_lo, s52, v0
	v_dual_cndmask_b32 v1, v1, v4 :: v_dual_cndmask_b32 v0, v0, v5
	v_ashrrev_i32_e32 v4, 31, v2
	s_delay_alu instid0(VALU_DEP_2) | instskip(NEXT) | instid1(VALU_DEP_3)
	v_add_nc_u32_e32 v5, 1, v1
	v_cmp_le_u32_e32 vcc_lo, s52, v0
	s_delay_alu instid0(VALU_DEP_3) | instskip(NEXT) | instid1(VALU_DEP_3)
	v_xor_b32_e32 v4, s57, v4
	v_cndmask_b32_e32 v0, v1, v5, vcc_lo
	s_delay_alu instid0(VALU_DEP_1) | instskip(NEXT) | instid1(VALU_DEP_1)
	v_xor_b32_e32 v0, v0, v4
	v_sub_nc_u32_e32 v1, v0, v4
	s_delay_alu instid0(VALU_DEP_1) | instskip(NEXT) | instid1(VALU_DEP_1)
	v_sub_nc_u32_e32 v0, 0, v1
	v_max_i32_e32 v0, v1, v0
	s_delay_alu instid0(VALU_DEP_1) | instskip(NEXT) | instid1(VALU_DEP_1)
	v_mul_hi_u32 v4, v0, v11
	v_mul_lo_u32 v5, v4, s53
	s_delay_alu instid0(VALU_DEP_1) | instskip(SKIP_1) | instid1(VALU_DEP_2)
	v_sub_nc_u32_e32 v0, v0, v5
	v_add_nc_u32_e32 v5, 1, v4
	v_subrev_nc_u32_e32 v6, s53, v0
	v_cmp_le_u32_e32 vcc_lo, s53, v0
	s_delay_alu instid0(VALU_DEP_3) | instskip(NEXT) | instid1(VALU_DEP_3)
	v_cndmask_b32_e32 v4, v4, v5, vcc_lo
	v_cndmask_b32_e32 v0, v0, v6, vcc_lo
	v_ashrrev_i32_e32 v5, 31, v1
	s_delay_alu instid0(VALU_DEP_3) | instskip(NEXT) | instid1(VALU_DEP_3)
	v_add_nc_u32_e32 v6, 1, v4
	v_cmp_le_u32_e32 vcc_lo, s53, v0
	s_delay_alu instid0(VALU_DEP_3) | instskip(NEXT) | instid1(VALU_DEP_3)
	v_xor_b32_e32 v5, s58, v5
	v_cndmask_b32_e32 v0, v4, v6, vcc_lo
	s_delay_alu instid0(VALU_DEP_1) | instskip(NEXT) | instid1(VALU_DEP_1)
	v_xor_b32_e32 v0, v0, v5
	v_sub_nc_u32_e32 v4, v0, v5
	s_delay_alu instid0(VALU_DEP_1) | instskip(NEXT) | instid1(VALU_DEP_1)
	v_sub_nc_u32_e32 v0, 0, v4
	v_max_i32_e32 v0, v4, v0
	s_delay_alu instid0(VALU_DEP_1) | instskip(NEXT) | instid1(VALU_DEP_1)
	v_mul_hi_u32 v5, v0, v12
	v_mul_lo_u32 v6, v5, s54
	s_delay_alu instid0(VALU_DEP_1) | instskip(SKIP_1) | instid1(VALU_DEP_2)
	v_sub_nc_u32_e32 v0, v0, v6
	v_add_nc_u32_e32 v6, 1, v5
	v_subrev_nc_u32_e32 v7, s54, v0
	v_cmp_le_u32_e32 vcc_lo, s54, v0
	s_delay_alu instid0(VALU_DEP_2) | instskip(SKIP_1) | instid1(VALU_DEP_2)
	v_dual_cndmask_b32 v5, v5, v6 :: v_dual_cndmask_b32 v0, v0, v7
	v_ashrrev_i32_e32 v6, 31, v4
	v_add_nc_u32_e32 v7, 1, v5
	s_delay_alu instid0(VALU_DEP_3) | instskip(NEXT) | instid1(VALU_DEP_3)
	v_cmp_le_u32_e32 vcc_lo, s54, v0
	v_xor_b32_e32 v6, s59, v6
	s_delay_alu instid0(VALU_DEP_3) | instskip(NEXT) | instid1(VALU_DEP_1)
	v_cndmask_b32_e32 v0, v5, v7, vcc_lo
	v_xor_b32_e32 v0, v0, v6
	s_delay_alu instid0(VALU_DEP_1) | instskip(NEXT) | instid1(VALU_DEP_1)
	v_sub_nc_u32_e32 v0, v0, v6
	v_sub_nc_u32_e32 v5, 0, v0
	s_delay_alu instid0(VALU_DEP_1) | instskip(NEXT) | instid1(VALU_DEP_1)
	v_max_i32_e32 v5, v0, v5
	v_mul_hi_u32 v6, v5, v13
	s_delay_alu instid0(VALU_DEP_1) | instskip(NEXT) | instid1(VALU_DEP_1)
	v_mul_lo_u32 v7, v6, s33
	v_sub_nc_u32_e32 v5, v5, v7
	v_add_nc_u32_e32 v7, 1, v6
	s_delay_alu instid0(VALU_DEP_2) | instskip(SKIP_1) | instid1(VALU_DEP_2)
	v_subrev_nc_u32_e32 v8, s33, v5
	v_cmp_le_u32_e32 vcc_lo, s33, v5
	v_dual_cndmask_b32 v6, v6, v7 :: v_dual_cndmask_b32 v5, v5, v8
	v_ashrrev_i32_e32 v7, 31, v0
	s_delay_alu instid0(VALU_DEP_2) | instskip(NEXT) | instid1(VALU_DEP_3)
	v_add_nc_u32_e32 v8, 1, v6
	v_cmp_le_u32_e32 vcc_lo, s33, v5
	s_delay_alu instid0(VALU_DEP_3) | instskip(NEXT) | instid1(VALU_DEP_3)
	v_xor_b32_e32 v7, s8, v7
	v_cndmask_b32_e32 v5, v6, v8, vcc_lo
	v_mul_lo_u32 v6, v1, s28
	v_mul_lo_u32 v8, v0, s10
	s_and_not1_b32 vcc_lo, exec_lo, s15
	s_delay_alu instid0(VALU_DEP_3) | instskip(NEXT) | instid1(VALU_DEP_3)
	v_xor_b32_e32 v5, v5, v7
	v_sub_nc_u32_e32 v15, v2, v6
	s_delay_alu instid0(VALU_DEP_2) | instskip(SKIP_2) | instid1(VALU_DEP_3)
	v_sub_nc_u32_e32 v18, v5, v7
	v_mul_lo_u32 v7, v4, s11
	v_sub_nc_u32_e32 v17, v4, v8
	v_mul_lo_u32 v5, v18, s9
	s_delay_alu instid0(VALU_DEP_3) | instskip(NEXT) | instid1(VALU_DEP_2)
	v_sub_nc_u32_e32 v16, v1, v7
	v_sub_nc_u32_e32 v0, v0, v5
	s_delay_alu instid0(VALU_DEP_1)
	v_ashrrev_i32_e32 v1, 31, v0
	s_cbranch_vccnz .LBB1_14
; %bb.4:                                ;   in Loop: Header=BB1_3 Depth=1
	v_sub_nc_u32_e32 v4, 0, v0
	v_mul_lo_u32 v20, v16, s17
	v_mul_lo_u32 v9, v15, s18
	;; [unrolled: 1-line block ×3, first 2 shown]
	s_mov_b32 s61, 0
	v_max_i32_e32 v4, v0, v4
	s_delay_alu instid0(VALU_DEP_4) | instskip(NEXT) | instid1(VALU_DEP_2)
	v_subrev_nc_u32_e32 v20, s36, v20
	v_mul_hi_u32 v5, v4, v14
	v_subrev_nc_u32_e32 v21, s37, v9
	v_ashrrev_i32_e32 v9, 31, v8
	s_delay_alu instid0(VALU_DEP_4) | instskip(NEXT) | instid1(VALU_DEP_3)
	v_mul_lo_u32 v26, s23, v20
	v_mul_lo_u32 v28, s3, v21
	s_delay_alu instid0(VALU_DEP_3) | instskip(SKIP_1) | instid1(VALU_DEP_4)
	v_lshlrev_b64 v[8:9], 3, v[8:9]
	v_mul_lo_u32 v6, v5, s55
	v_ashrrev_i32_e32 v27, 31, v26
	s_delay_alu instid0(VALU_DEP_4) | instskip(NEXT) | instid1(VALU_DEP_3)
	v_ashrrev_i32_e32 v29, 31, v28
	v_sub_nc_u32_e32 v4, v4, v6
	v_add_nc_u32_e32 v6, 1, v5
	s_delay_alu instid0(VALU_DEP_2) | instskip(SKIP_1) | instid1(VALU_DEP_2)
	v_subrev_nc_u32_e32 v7, s55, v4
	v_cmp_le_u32_e32 vcc_lo, s55, v4
	v_dual_cndmask_b32 v5, v5, v6 :: v_dual_cndmask_b32 v4, v4, v7
	v_xor_b32_e32 v7, s60, v1
	s_delay_alu instid0(VALU_DEP_2) | instskip(NEXT) | instid1(VALU_DEP_3)
	v_add_nc_u32_e32 v6, 1, v5
	v_cmp_le_u32_e32 vcc_lo, s55, v4
	s_delay_alu instid0(VALU_DEP_2) | instskip(SKIP_2) | instid1(VALU_DEP_3)
	v_cndmask_b32_e32 v4, v5, v6, vcc_lo
	v_mul_lo_u32 v5, v17, s16
	v_mul_lo_u32 v6, s20, v18
	v_xor_b32_e32 v4, v4, v7
	s_delay_alu instid0(VALU_DEP_3) | instskip(NEXT) | instid1(VALU_DEP_2)
	v_subrev_nc_u32_e32 v19, s19, v5
	v_sub_nc_u32_e32 v4, v4, v7
	s_delay_alu instid0(VALU_DEP_4) | instskip(NEXT) | instid1(VALU_DEP_3)
	v_ashrrev_i32_e32 v7, 31, v6
	v_mul_lo_u32 v24, s22, v19
	s_delay_alu instid0(VALU_DEP_3) | instskip(NEXT) | instid1(VALU_DEP_3)
	v_mul_lo_u32 v22, s21, v4
	v_lshlrev_b64 v[6:7], 3, v[6:7]
	v_mov_b32_e32 v4, 0
	v_mov_b32_e32 v5, 0
	v_ashrrev_i32_e32 v25, 31, v24
	v_ashrrev_i32_e32 v23, 31, v22
	v_add_co_u32 v30, vcc_lo, s38, v6
	v_add_co_ci_u32_e32 v31, vcc_lo, s39, v7, vcc_lo
	s_delay_alu instid0(VALU_DEP_3) | instskip(SKIP_1) | instid1(VALU_DEP_2)
	v_lshlrev_b64 v[22:23], 3, v[22:23]
	v_lshlrev_b64 v[6:7], 3, v[24:25]
	v_add_co_u32 v24, vcc_lo, v30, v22
	s_delay_alu instid0(VALU_DEP_3) | instskip(SKIP_1) | instid1(VALU_DEP_3)
	v_add_co_ci_u32_e32 v25, vcc_lo, v31, v23, vcc_lo
	v_lshlrev_b64 v[22:23], 3, v[26:27]
	v_add_co_u32 v24, vcc_lo, v24, v6
	s_delay_alu instid0(VALU_DEP_3) | instskip(SKIP_1) | instid1(VALU_DEP_3)
	v_add_co_ci_u32_e32 v25, vcc_lo, v25, v7, vcc_lo
	v_lshlrev_b64 v[6:7], 3, v[28:29]
	v_add_co_u32 v22, vcc_lo, v24, v22
	s_delay_alu instid0(VALU_DEP_3) | instskip(NEXT) | instid1(VALU_DEP_2)
	v_add_co_ci_u32_e32 v23, vcc_lo, v25, v23, vcc_lo
	v_add_co_u32 v6, vcc_lo, v22, v6
	s_delay_alu instid0(VALU_DEP_2)
	v_add_co_ci_u32_e32 v7, vcc_lo, v23, v7, vcc_lo
	s_waitcnt lgkmcnt(0)
	v_add_co_u32 v8, vcc_lo, s42, v8
	v_add_co_ci_u32_e32 v9, vcc_lo, s43, v9, vcc_lo
	s_branch .LBB1_6
.LBB1_5:                                ;   in Loop: Header=BB1_6 Depth=2
	s_set_inst_prefetch_distance 0x2
	v_add_co_u32 v6, vcc_lo, v6, s46
	v_add_co_ci_u32_e32 v7, vcc_lo, s47, v7, vcc_lo
	s_add_i32 s61, s61, 1
	s_delay_alu instid0(SALU_CYCLE_1)
	s_cmp_eq_u32 s61, s12
	s_cbranch_scc1 .LBB1_15
.LBB1_6:                                ;   Parent Loop BB1_3 Depth=1
                                        ; =>  This Loop Header: Depth=2
                                        ;       Child Loop BB1_9 Depth 3
                                        ;         Child Loop BB1_12 Depth 4
	s_and_not1_b32 vcc_lo, exec_lo, s49
	s_cbranch_vccnz .LBB1_5
; %bb.7:                                ;   in Loop: Header=BB1_6 Depth=2
	v_add_nc_u32_e32 v22, s61, v19
	s_mov_b32 s62, 0
	s_delay_alu instid0(VALU_DEP_1)
	v_cmp_lt_i32_e64 s0, -1, v22
	v_cmp_gt_i32_e64 s1, s5, v22
	s_set_inst_prefetch_distance 0x1
	s_branch .LBB1_9
	.p2align	6
.LBB1_8:                                ;   in Loop: Header=BB1_9 Depth=3
	v_add_co_u32 v6, vcc_lo, v6, s44
	v_add_co_ci_u32_e32 v7, vcc_lo, s45, v7, vcc_lo
	s_add_i32 s62, s62, 1
	s_delay_alu instid0(SALU_CYCLE_1)
	s_cmp_eq_u32 s62, s13
	s_cbranch_scc1 .LBB1_5
.LBB1_9:                                ;   Parent Loop BB1_3 Depth=1
                                        ;     Parent Loop BB1_6 Depth=2
                                        ; =>    This Loop Header: Depth=3
                                        ;         Child Loop BB1_12 Depth 4
	s_and_not1_b32 vcc_lo, exec_lo, s50
	s_cbranch_vccnz .LBB1_8
; %bb.10:                               ;   in Loop: Header=BB1_9 Depth=3
	v_dual_mov_b32 v22, v21 :: v_dual_add_nc_u32 v23, s62, v20
	s_mov_b32 s64, s14
	s_delay_alu instid0(VALU_DEP_1) | instskip(SKIP_1) | instid1(VALU_DEP_2)
	v_cmp_lt_i32_e64 s2, -1, v23
	v_cmp_gt_i32_e32 vcc_lo, s6, v23
	s_and_b32 s63, s0, s2
	s_branch .LBB1_12
	.p2align	6
.LBB1_11:                               ;   in Loop: Header=BB1_12 Depth=4
	s_or_b32 exec_lo, exec_lo, s2
	v_add_co_u32 v8, s2, v8, 8
	s_delay_alu instid0(VALU_DEP_1) | instskip(SKIP_1) | instid1(VALU_DEP_1)
	v_add_co_ci_u32_e64 v9, s2, 0, v9, s2
	v_add_co_u32 v6, s2, v6, 8
	v_add_co_ci_u32_e64 v7, s2, 0, v7, s2
	v_add_nc_u32_e32 v22, 1, v22
	s_add_i32 s64, s64, -1
	s_delay_alu instid0(SALU_CYCLE_1)
	s_cmp_eq_u32 s64, 0
	s_cbranch_scc1 .LBB1_8
.LBB1_12:                               ;   Parent Loop BB1_3 Depth=1
                                        ;     Parent Loop BB1_6 Depth=2
                                        ;       Parent Loop BB1_9 Depth=3
                                        ; =>      This Inner Loop Header: Depth=4
	s_delay_alu instid0(VALU_DEP_1) | instskip(NEXT) | instid1(VALU_DEP_1)
	v_cmp_lt_i32_e64 s2, -1, v22
	s_and_b32 s65, s63, s2
	v_cmp_gt_i32_e64 s2, s7, v22
	s_and_b32 s65, s65, s1
	s_delay_alu instid0(SALU_CYCLE_1)
	s_and_b32 s65, s65, vcc_lo
	s_delay_alu instid0(VALU_DEP_1) | instid1(SALU_CYCLE_1)
	s_and_b32 s65, s65, s2
	s_delay_alu instid0(SALU_CYCLE_1)
	s_and_saveexec_b32 s2, s65
	s_cbranch_execz .LBB1_11
; %bb.13:                               ;   in Loop: Header=BB1_12 Depth=4
	global_load_b64 v[23:24], v[8:9], off
	global_load_b64 v[25:26], v[6:7], off
	s_waitcnt vmcnt(0)
	v_fma_f64 v[4:5], v[23:24], v[25:26], v[4:5]
	s_branch .LBB1_11
.LBB1_14:                               ;   in Loop: Header=BB1_3 Depth=1
	v_mov_b32_e32 v4, 0
	v_mov_b32_e32 v5, 0
.LBB1_15:                               ;   in Loop: Header=BB1_3 Depth=1
	s_and_b32 vcc_lo, exec_lo, s51
	s_cbranch_vccz .LBB1_2
; %bb.16:                               ;   in Loop: Header=BB1_3 Depth=1
	v_lshlrev_b64 v[6:7], 3, v[0:1]
	s_delay_alu instid0(VALU_DEP_1) | instskip(NEXT) | instid1(VALU_DEP_2)
	v_add_co_u32 v6, vcc_lo, s34, v6
	v_add_co_ci_u32_e32 v7, vcc_lo, s35, v7, vcc_lo
	global_load_b64 v[6:7], v[6:7], off
	s_waitcnt vmcnt(0)
	v_add_f64 v[4:5], v[4:5], v[6:7]
	s_branch .LBB1_2
.LBB1_17:
	s_nop 0
	s_sendmsg sendmsg(MSG_DEALLOC_VGPRS)
	s_endpgm
	.section	.rodata,"a",@progbits
	.p2align	6, 0x0
	.amdhsa_kernel _ZN2at6native12_GLOBAL__N_128conv_depthwise3d_cuda_kernelIddLin1ELin1ELin1ELi1ELi1ELi1EEEvN5torch10headeronly6detail27GenericPackedTensorAccessorINS5_14TensorAccessorIN3c108ArrayRefIlEEKT_Lm4ENS4_16DefaultPtrTraitsEiEENS_6detail16IndexBoundsCheckILm5EiEESC_Lm5ESD_iEENS6_INS7_ISA_SB_Lm4ESD_iEESH_SB_Lm5ESD_iEESI_PSC_iiiiiiiii
		.amdhsa_group_segment_fixed_size 0
		.amdhsa_private_segment_fixed_size 0
		.amdhsa_kernarg_size 448
		.amdhsa_user_sgpr_count 15
		.amdhsa_user_sgpr_dispatch_ptr 0
		.amdhsa_user_sgpr_queue_ptr 0
		.amdhsa_user_sgpr_kernarg_segment_ptr 1
		.amdhsa_user_sgpr_dispatch_id 0
		.amdhsa_user_sgpr_private_segment_size 0
		.amdhsa_wavefront_size32 1
		.amdhsa_uses_dynamic_stack 0
		.amdhsa_enable_private_segment 0
		.amdhsa_system_sgpr_workgroup_id_x 1
		.amdhsa_system_sgpr_workgroup_id_y 0
		.amdhsa_system_sgpr_workgroup_id_z 0
		.amdhsa_system_sgpr_workgroup_info 0
		.amdhsa_system_vgpr_workitem_id 0
		.amdhsa_next_free_vgpr 32
		.amdhsa_next_free_sgpr 66
		.amdhsa_reserve_vcc 1
		.amdhsa_float_round_mode_32 0
		.amdhsa_float_round_mode_16_64 0
		.amdhsa_float_denorm_mode_32 3
		.amdhsa_float_denorm_mode_16_64 3
		.amdhsa_dx10_clamp 1
		.amdhsa_ieee_mode 1
		.amdhsa_fp16_overflow 0
		.amdhsa_workgroup_processor_mode 1
		.amdhsa_memory_ordered 1
		.amdhsa_forward_progress 0
		.amdhsa_shared_vgpr_count 0
		.amdhsa_exception_fp_ieee_invalid_op 0
		.amdhsa_exception_fp_denorm_src 0
		.amdhsa_exception_fp_ieee_div_zero 0
		.amdhsa_exception_fp_ieee_overflow 0
		.amdhsa_exception_fp_ieee_underflow 0
		.amdhsa_exception_fp_ieee_inexact 0
		.amdhsa_exception_int_div_zero 0
	.end_amdhsa_kernel
	.section	.text._ZN2at6native12_GLOBAL__N_128conv_depthwise3d_cuda_kernelIddLin1ELin1ELin1ELi1ELi1ELi1EEEvN5torch10headeronly6detail27GenericPackedTensorAccessorINS5_14TensorAccessorIN3c108ArrayRefIlEEKT_Lm4ENS4_16DefaultPtrTraitsEiEENS_6detail16IndexBoundsCheckILm5EiEESC_Lm5ESD_iEENS6_INS7_ISA_SB_Lm4ESD_iEESH_SB_Lm5ESD_iEESI_PSC_iiiiiiiii,"axG",@progbits,_ZN2at6native12_GLOBAL__N_128conv_depthwise3d_cuda_kernelIddLin1ELin1ELin1ELi1ELi1ELi1EEEvN5torch10headeronly6detail27GenericPackedTensorAccessorINS5_14TensorAccessorIN3c108ArrayRefIlEEKT_Lm4ENS4_16DefaultPtrTraitsEiEENS_6detail16IndexBoundsCheckILm5EiEESC_Lm5ESD_iEENS6_INS7_ISA_SB_Lm4ESD_iEESH_SB_Lm5ESD_iEESI_PSC_iiiiiiiii,comdat
.Lfunc_end1:
	.size	_ZN2at6native12_GLOBAL__N_128conv_depthwise3d_cuda_kernelIddLin1ELin1ELin1ELi1ELi1ELi1EEEvN5torch10headeronly6detail27GenericPackedTensorAccessorINS5_14TensorAccessorIN3c108ArrayRefIlEEKT_Lm4ENS4_16DefaultPtrTraitsEiEENS_6detail16IndexBoundsCheckILm5EiEESC_Lm5ESD_iEENS6_INS7_ISA_SB_Lm4ESD_iEESH_SB_Lm5ESD_iEESI_PSC_iiiiiiiii, .Lfunc_end1-_ZN2at6native12_GLOBAL__N_128conv_depthwise3d_cuda_kernelIddLin1ELin1ELin1ELi1ELi1ELi1EEEvN5torch10headeronly6detail27GenericPackedTensorAccessorINS5_14TensorAccessorIN3c108ArrayRefIlEEKT_Lm4ENS4_16DefaultPtrTraitsEiEENS_6detail16IndexBoundsCheckILm5EiEESC_Lm5ESD_iEENS6_INS7_ISA_SB_Lm4ESD_iEESH_SB_Lm5ESD_iEESI_PSC_iiiiiiiii
                                        ; -- End function
	.section	.AMDGPU.csdata,"",@progbits
; Kernel info:
; codeLenInByte = 2136
; NumSgprs: 68
; NumVgprs: 32
; ScratchSize: 0
; MemoryBound: 1
; FloatMode: 240
; IeeeMode: 1
; LDSByteSize: 0 bytes/workgroup (compile time only)
; SGPRBlocks: 8
; VGPRBlocks: 3
; NumSGPRsForWavesPerEU: 68
; NumVGPRsForWavesPerEU: 32
; Occupancy: 16
; WaveLimiterHint : 0
; COMPUTE_PGM_RSRC2:SCRATCH_EN: 0
; COMPUTE_PGM_RSRC2:USER_SGPR: 15
; COMPUTE_PGM_RSRC2:TRAP_HANDLER: 0
; COMPUTE_PGM_RSRC2:TGID_X_EN: 1
; COMPUTE_PGM_RSRC2:TGID_Y_EN: 0
; COMPUTE_PGM_RSRC2:TGID_Z_EN: 0
; COMPUTE_PGM_RSRC2:TIDIG_COMP_CNT: 0
	.section	.text._ZN2at6native12_GLOBAL__N_128conv_depthwise3d_cuda_kernelIddLin1ELin1ELin1ELin1ELin1ELin1EEEvN5torch10headeronly6detail27GenericPackedTensorAccessorINS5_14TensorAccessorIN3c108ArrayRefIlEEKT_Lm4ENS4_16DefaultPtrTraitsEiEENS_6detail16IndexBoundsCheckILm5EiEESC_Lm5ESD_iEENS6_INS7_ISA_SB_Lm4ESD_iEESH_SB_Lm5ESD_iEESI_PSC_iiiiiiiii,"axG",@progbits,_ZN2at6native12_GLOBAL__N_128conv_depthwise3d_cuda_kernelIddLin1ELin1ELin1ELin1ELin1ELin1EEEvN5torch10headeronly6detail27GenericPackedTensorAccessorINS5_14TensorAccessorIN3c108ArrayRefIlEEKT_Lm4ENS4_16DefaultPtrTraitsEiEENS_6detail16IndexBoundsCheckILm5EiEESC_Lm5ESD_iEENS6_INS7_ISA_SB_Lm4ESD_iEESH_SB_Lm5ESD_iEESI_PSC_iiiiiiiii,comdat
	.globl	_ZN2at6native12_GLOBAL__N_128conv_depthwise3d_cuda_kernelIddLin1ELin1ELin1ELin1ELin1ELin1EEEvN5torch10headeronly6detail27GenericPackedTensorAccessorINS5_14TensorAccessorIN3c108ArrayRefIlEEKT_Lm4ENS4_16DefaultPtrTraitsEiEENS_6detail16IndexBoundsCheckILm5EiEESC_Lm5ESD_iEENS6_INS7_ISA_SB_Lm4ESD_iEESH_SB_Lm5ESD_iEESI_PSC_iiiiiiiii ; -- Begin function _ZN2at6native12_GLOBAL__N_128conv_depthwise3d_cuda_kernelIddLin1ELin1ELin1ELin1ELin1ELin1EEEvN5torch10headeronly6detail27GenericPackedTensorAccessorINS5_14TensorAccessorIN3c108ArrayRefIlEEKT_Lm4ENS4_16DefaultPtrTraitsEiEENS_6detail16IndexBoundsCheckILm5EiEESC_Lm5ESD_iEENS6_INS7_ISA_SB_Lm4ESD_iEESH_SB_Lm5ESD_iEESI_PSC_iiiiiiiii
	.p2align	8
	.type	_ZN2at6native12_GLOBAL__N_128conv_depthwise3d_cuda_kernelIddLin1ELin1ELin1ELin1ELin1ELin1EEEvN5torch10headeronly6detail27GenericPackedTensorAccessorINS5_14TensorAccessorIN3c108ArrayRefIlEEKT_Lm4ENS4_16DefaultPtrTraitsEiEENS_6detail16IndexBoundsCheckILm5EiEESC_Lm5ESD_iEENS6_INS7_ISA_SB_Lm4ESD_iEESH_SB_Lm5ESD_iEESI_PSC_iiiiiiiii,@function
_ZN2at6native12_GLOBAL__N_128conv_depthwise3d_cuda_kernelIddLin1ELin1ELin1ELin1ELin1ELin1EEEvN5torch10headeronly6detail27GenericPackedTensorAccessorINS5_14TensorAccessorIN3c108ArrayRefIlEEKT_Lm4ENS4_16DefaultPtrTraitsEiEENS_6detail16IndexBoundsCheckILm5EiEESC_Lm5ESD_iEENS6_INS7_ISA_SB_Lm4ESD_iEESH_SB_Lm5ESD_iEESI_PSC_iiiiiiiii: ; @_ZN2at6native12_GLOBAL__N_128conv_depthwise3d_cuda_kernelIddLin1ELin1ELin1ELin1ELin1ELin1EEEvN5torch10headeronly6detail27GenericPackedTensorAccessorINS5_14TensorAccessorIN3c108ArrayRefIlEEKT_Lm4ENS4_16DefaultPtrTraitsEiEENS_6detail16IndexBoundsCheckILm5EiEESC_Lm5ESD_iEENS6_INS7_ISA_SB_Lm4ESD_iEESH_SB_Lm5ESD_iEESI_PSC_iiiiiiiii
; %bb.0:
	s_clause 0x3
	s_load_b128 s[16:19], s[0:1], 0xc
	s_load_b32 s4, s[0:1], 0xcc
	s_load_b128 s[20:23], s[0:1], 0x38
	s_load_b64 s[34:35], s[0:1], 0x48
	s_mov_b32 s5, exec_lo
	s_waitcnt lgkmcnt(0)
	s_abs_i32 s24, s16
	s_add_u32 s2, s0, 0xc0
	v_cvt_f32_u32_e32 v1, s24
	s_addc_u32 s3, s1, 0
	s_and_b32 s48, s4, 0xffff
	s_mul_i32 s36, s35, s20
	s_delay_alu instid0(SALU_CYCLE_1) | instskip(SKIP_3) | instid1(VALU_DEP_1)
	s_ashr_i32 s37, s36, 31
	v_rcp_iflag_f32_e32 v2, v1
	s_waitcnt_depctr 0xfff
	v_dual_mov_b32 v1, 0 :: v_dual_mul_f32 v4, 0x4f7ffffe, v2
	v_mad_u64_u32 v[2:3], null, s48, s15, v[0:1]
	s_delay_alu instid0(VALU_DEP_2) | instskip(NEXT) | instid1(VALU_DEP_1)
	v_cvt_u32_f32_e32 v0, v4
	v_readfirstlane_b32 s4, v0
	s_delay_alu instid0(VALU_DEP_3)
	v_cmpx_gt_i64_e64 s[36:37], v[2:3]
	s_cbranch_execz .LBB2_17
; %bb.1:
	s_sub_i32 s5, 0, s24
	s_ashr_i32 s25, s16, 31
	s_mul_i32 s5, s5, s4
	s_abs_i32 s16, s21
	s_mul_hi_u32 s5, s4, s5
	s_clause 0x1
	s_load_b128 s[12:15], s[0:1], 0x70
	s_load_b64 s[40:41], s[0:1], 0x90
	s_add_i32 s4, s4, s5
	s_ashr_i32 s20, s21, 31
	s_waitcnt lgkmcnt(0)
	s_mul_hi_u32 s15, s16, s4
	s_load_b256 s[4:11], s[0:1], 0x98
	s_mul_i32 s26, s15, s24
	s_load_b32 s38, s[0:1], 0xb8
	s_sub_i32 s26, s16, s26
	s_xor_b32 s25, s20, s25
	s_add_i32 s27, s15, 1
	s_sub_i32 s28, s26, s24
	s_cmp_ge_u32 s26, s24
	s_load_b32 s2, s[2:3], 0x0
	s_cselect_b32 s15, s27, s15
	s_cselect_b32 s26, s28, s26
	s_add_i32 s27, s15, 1
	s_cmp_ge_u32 s26, s24
	v_cvt_f32_u32_e32 v5, s16
	s_cselect_b32 s15, s27, s15
	s_mov_b32 s59, 0
	s_xor_b32 s24, s15, s25
	s_load_b32 s15, s[0:1], 0x7c
	s_sub_i32 s49, s24, s25
	s_cmp_gt_i32 s12, 0
	s_waitcnt lgkmcnt(0)
	s_mul_i32 s25, s18, s10
	s_cselect_b32 s33, -1, 0
	s_cmp_gt_i32 s13, 0
	s_mul_i32 s26, s13, s11
	s_cselect_b32 s54, -1, 0
	s_cmp_gt_i32 s14, 0
	s_mul_i32 s24, s19, s11
	s_cselect_b32 s55, -1, 0
	s_mul_i32 s27, s14, s38
	s_sub_i32 s25, s25, s26
	s_sub_i32 s50, s24, s27
	s_mul_i32 s52, s25, s19
	s_ashr_i32 s39, s38, 31
	s_ashr_i32 s51, s50, 31
	;; [unrolled: 1-line block ×3, first 2 shown]
	s_cmp_lg_u64 s[40:41], 0
	v_rcp_iflag_f32_e32 v5, v5
	s_cselect_b32 s56, -1, 0
	s_abs_i32 s57, s34
	s_abs_i32 s58, s23
	v_cvt_f32_u32_e32 v0, s57
	v_cvt_f32_u32_e32 v1, s58
	s_abs_i32 s3, s22
	s_abs_i32 s60, s49
	v_cvt_f32_u32_e32 v4, s3
	v_rcp_iflag_f32_e32 v0, v0
	v_rcp_iflag_f32_e32 v1, v1
	v_cvt_f32_u32_e32 v6, s60
	s_sub_i32 s29, 0, s58
	v_rcp_iflag_f32_e32 v4, v4
	v_mul_f32_e32 v5, 0x4f7ffffe, v5
	s_sub_i32 s28, 0, s57
	v_rcp_iflag_f32_e32 v6, v6
	s_clause 0x3
	s_load_b64 s[42:43], s[0:1], 0x0
	s_load_b128 s[24:27], s[0:1], 0x1c
	s_load_b32 s61, s[0:1], 0x2c
	s_load_b64 s[44:45], s[0:1], 0x30
	v_dual_mul_f32 v0, 0x4f7ffffe, v0 :: v_dual_mul_f32 v1, 0x4f7ffffe, v1
	v_cvt_u32_f32_e32 v5, v5
	s_mul_i32 s62, s2, s48
	s_waitcnt_depctr 0xfff
	v_mul_f32_e32 v4, 0x4f7ffffe, v4
	v_cvt_u32_f32_e32 v0, v0
	v_cvt_u32_f32_e32 v1, v1
	s_ashr_i32 s63, s34, 31
	s_ashr_i32 s64, s23, 31
	v_cvt_u32_f32_e32 v4, v4
	v_mul_lo_u32 v7, s28, v0
	v_mul_lo_u32 v8, s29, v1
	s_sub_i32 s28, 0, s3
	s_sub_i32 s29, 0, s16
	v_mul_lo_u32 v9, s28, v4
	s_sub_i32 s28, 0, s60
	v_mul_lo_u32 v10, s29, v5
	s_ashr_i32 s65, s22, 31
	v_mul_hi_u32 v7, v0, v7
	v_mul_hi_u32 v8, v1, v8
	v_mul_f32_e32 v6, 0x4f7ffffe, v6
	s_ashr_i32 s66, s49, 31
	v_mul_hi_u32 v9, v4, v9
	s_lshl_b64 s[48:49], s[38:39], 3
	v_mul_hi_u32 v10, v5, v10
	s_lshl_b64 s[50:51], s[50:51], 3
	v_add_nc_u32_e32 v12, v0, v7
	v_add_nc_u32_e32 v13, v1, v8
	v_cvt_u32_f32_e32 v6, v6
	s_lshl_b64 s[52:53], s[52:53], 3
	v_add_nc_u32_e32 v14, v4, v9
	v_add_nc_u32_e32 v15, v5, v10
	s_delay_alu instid0(VALU_DEP_3) | instskip(SKIP_3) | instid1(VALU_DEP_1)
	v_mul_lo_u32 v11, s28, v6
	s_clause 0x1
	s_load_b64 s[46:47], s[0:1], 0x60
	s_load_b128 s[28:31], s[0:1], 0x50
	v_mul_hi_u32 v11, v6, v11
	s_delay_alu instid0(VALU_DEP_1)
	v_add_nc_u32_e32 v16, v6, v11
	s_branch .LBB2_3
.LBB2_2:                                ;   in Loop: Header=BB2_3 Depth=1
	v_mul_lo_u32 v6, v20, s35
	s_waitcnt lgkmcnt(0)
	v_mul_lo_u32 v0, s28, v0
	v_mul_lo_u32 v8, s29, v19
	;; [unrolled: 1-line block ×3, first 2 shown]
	v_add_co_u32 v2, vcc_lo, v2, s62
	v_add_co_ci_u32_e32 v3, vcc_lo, 0, v3, vcc_lo
	v_ashrrev_i32_e32 v7, 31, v6
	v_ashrrev_i32_e32 v1, 31, v0
	;; [unrolled: 1-line block ×3, first 2 shown]
	v_mul_lo_u32 v17, s31, v17
	v_ashrrev_i32_e32 v11, 31, v10
	v_lshlrev_b64 v[6:7], 3, v[6:7]
	v_lshlrev_b64 v[0:1], 3, v[0:1]
	s_delay_alu instid0(VALU_DEP_4) | instskip(NEXT) | instid1(VALU_DEP_3)
	v_ashrrev_i32_e32 v18, 31, v17
	v_add_co_u32 v19, vcc_lo, s44, v6
	s_delay_alu instid0(VALU_DEP_4) | instskip(SKIP_1) | instid1(VALU_DEP_3)
	v_add_co_ci_u32_e32 v20, vcc_lo, s45, v7, vcc_lo
	v_lshlrev_b64 v[6:7], 3, v[8:9]
	v_add_co_u32 v8, vcc_lo, v19, v0
	s_delay_alu instid0(VALU_DEP_3) | instskip(SKIP_1) | instid1(VALU_DEP_3)
	v_add_co_ci_u32_e32 v9, vcc_lo, v20, v1, vcc_lo
	v_lshlrev_b64 v[0:1], 3, v[10:11]
	v_add_co_u32 v8, vcc_lo, v8, v6
	s_delay_alu instid0(VALU_DEP_3) | instskip(SKIP_1) | instid1(VALU_DEP_3)
	;; [unrolled: 4-line block ×3, first 2 shown]
	v_add_co_ci_u32_e32 v1, vcc_lo, v9, v1, vcc_lo
	v_cmp_le_i64_e32 vcc_lo, s[36:37], v[2:3]
	v_add_co_u32 v0, s0, v0, v6
	s_delay_alu instid0(VALU_DEP_1)
	v_add_co_ci_u32_e64 v1, s0, v1, v7, s0
	s_or_b32 s59, vcc_lo, s59
	global_store_b64 v[0:1], v[4:5], off
	s_and_not1_b32 exec_lo, exec_lo, s59
	s_cbranch_execz .LBB2_17
.LBB2_3:                                ; =>This Loop Header: Depth=1
                                        ;     Child Loop BB2_6 Depth 2
                                        ;       Child Loop BB2_9 Depth 3
                                        ;         Child Loop BB2_12 Depth 4
	v_sub_nc_u32_e32 v0, 0, v2
	s_delay_alu instid0(VALU_DEP_1) | instskip(NEXT) | instid1(VALU_DEP_1)
	v_max_i32_e32 v0, v2, v0
	v_mul_hi_u32 v1, v0, v12
	s_delay_alu instid0(VALU_DEP_1) | instskip(NEXT) | instid1(VALU_DEP_1)
	v_mul_lo_u32 v4, v1, s57
	v_sub_nc_u32_e32 v0, v0, v4
	v_add_nc_u32_e32 v4, 1, v1
	s_delay_alu instid0(VALU_DEP_2) | instskip(SKIP_1) | instid1(VALU_DEP_2)
	v_subrev_nc_u32_e32 v5, s57, v0
	v_cmp_le_u32_e32 vcc_lo, s57, v0
	v_dual_cndmask_b32 v1, v1, v4 :: v_dual_cndmask_b32 v0, v0, v5
	v_ashrrev_i32_e32 v4, 31, v2
	s_delay_alu instid0(VALU_DEP_2) | instskip(NEXT) | instid1(VALU_DEP_3)
	v_add_nc_u32_e32 v5, 1, v1
	v_cmp_le_u32_e32 vcc_lo, s57, v0
	s_delay_alu instid0(VALU_DEP_3) | instskip(NEXT) | instid1(VALU_DEP_3)
	v_xor_b32_e32 v4, s63, v4
	v_cndmask_b32_e32 v0, v1, v5, vcc_lo
	s_delay_alu instid0(VALU_DEP_1) | instskip(NEXT) | instid1(VALU_DEP_1)
	v_xor_b32_e32 v0, v0, v4
	v_sub_nc_u32_e32 v1, v0, v4
	s_delay_alu instid0(VALU_DEP_1) | instskip(NEXT) | instid1(VALU_DEP_1)
	v_sub_nc_u32_e32 v0, 0, v1
	v_max_i32_e32 v0, v1, v0
	s_delay_alu instid0(VALU_DEP_1) | instskip(NEXT) | instid1(VALU_DEP_1)
	v_mul_hi_u32 v4, v0, v13
	v_mul_lo_u32 v5, v4, s58
	s_delay_alu instid0(VALU_DEP_1) | instskip(SKIP_1) | instid1(VALU_DEP_2)
	v_sub_nc_u32_e32 v0, v0, v5
	v_add_nc_u32_e32 v5, 1, v4
	v_subrev_nc_u32_e32 v6, s58, v0
	v_cmp_le_u32_e32 vcc_lo, s58, v0
	s_delay_alu instid0(VALU_DEP_3) | instskip(NEXT) | instid1(VALU_DEP_3)
	v_cndmask_b32_e32 v4, v4, v5, vcc_lo
	v_cndmask_b32_e32 v0, v0, v6, vcc_lo
	v_ashrrev_i32_e32 v5, 31, v1
	s_delay_alu instid0(VALU_DEP_3) | instskip(NEXT) | instid1(VALU_DEP_3)
	v_add_nc_u32_e32 v6, 1, v4
	v_cmp_le_u32_e32 vcc_lo, s58, v0
	s_delay_alu instid0(VALU_DEP_3) | instskip(NEXT) | instid1(VALU_DEP_3)
	v_xor_b32_e32 v5, s64, v5
	v_cndmask_b32_e32 v0, v4, v6, vcc_lo
	s_delay_alu instid0(VALU_DEP_1) | instskip(NEXT) | instid1(VALU_DEP_1)
	v_xor_b32_e32 v0, v0, v5
	v_sub_nc_u32_e32 v4, v0, v5
	s_delay_alu instid0(VALU_DEP_1) | instskip(NEXT) | instid1(VALU_DEP_1)
	v_sub_nc_u32_e32 v0, 0, v4
	v_max_i32_e32 v0, v4, v0
	s_delay_alu instid0(VALU_DEP_1) | instskip(NEXT) | instid1(VALU_DEP_1)
	v_mul_hi_u32 v5, v0, v14
	v_mul_lo_u32 v6, v5, s3
	s_delay_alu instid0(VALU_DEP_1) | instskip(SKIP_1) | instid1(VALU_DEP_2)
	v_sub_nc_u32_e32 v0, v0, v6
	v_add_nc_u32_e32 v6, 1, v5
	v_subrev_nc_u32_e32 v7, s3, v0
	v_cmp_le_u32_e32 vcc_lo, s3, v0
	s_delay_alu instid0(VALU_DEP_2) | instskip(SKIP_1) | instid1(VALU_DEP_2)
	v_dual_cndmask_b32 v5, v5, v6 :: v_dual_cndmask_b32 v0, v0, v7
	v_ashrrev_i32_e32 v6, 31, v4
	v_add_nc_u32_e32 v7, 1, v5
	s_delay_alu instid0(VALU_DEP_3) | instskip(NEXT) | instid1(VALU_DEP_3)
	v_cmp_le_u32_e32 vcc_lo, s3, v0
	v_xor_b32_e32 v6, s65, v6
	s_delay_alu instid0(VALU_DEP_3) | instskip(NEXT) | instid1(VALU_DEP_1)
	v_cndmask_b32_e32 v0, v5, v7, vcc_lo
	v_xor_b32_e32 v0, v0, v6
	s_delay_alu instid0(VALU_DEP_1) | instskip(NEXT) | instid1(VALU_DEP_1)
	v_sub_nc_u32_e32 v0, v0, v6
	v_sub_nc_u32_e32 v5, 0, v0
	s_delay_alu instid0(VALU_DEP_1) | instskip(NEXT) | instid1(VALU_DEP_1)
	v_max_i32_e32 v5, v0, v5
	v_mul_hi_u32 v6, v5, v15
	s_delay_alu instid0(VALU_DEP_1) | instskip(NEXT) | instid1(VALU_DEP_1)
	v_mul_lo_u32 v7, v6, s16
	v_sub_nc_u32_e32 v5, v5, v7
	v_add_nc_u32_e32 v7, 1, v6
	s_delay_alu instid0(VALU_DEP_2) | instskip(SKIP_1) | instid1(VALU_DEP_2)
	v_subrev_nc_u32_e32 v8, s16, v5
	v_cmp_le_u32_e32 vcc_lo, s16, v5
	v_dual_cndmask_b32 v6, v6, v7 :: v_dual_cndmask_b32 v5, v5, v8
	v_ashrrev_i32_e32 v7, 31, v0
	s_delay_alu instid0(VALU_DEP_2) | instskip(NEXT) | instid1(VALU_DEP_3)
	v_add_nc_u32_e32 v8, 1, v6
	v_cmp_le_u32_e32 vcc_lo, s16, v5
	s_delay_alu instid0(VALU_DEP_3) | instskip(NEXT) | instid1(VALU_DEP_3)
	v_xor_b32_e32 v7, s20, v7
	v_cndmask_b32_e32 v5, v6, v8, vcc_lo
	v_mul_lo_u32 v6, v1, s34
	v_mul_lo_u32 v8, v0, s22
	s_and_not1_b32 vcc_lo, exec_lo, s33
	s_delay_alu instid0(VALU_DEP_3) | instskip(NEXT) | instid1(VALU_DEP_3)
	v_xor_b32_e32 v5, v5, v7
	v_sub_nc_u32_e32 v17, v2, v6
	s_delay_alu instid0(VALU_DEP_2) | instskip(SKIP_2) | instid1(VALU_DEP_3)
	v_sub_nc_u32_e32 v20, v5, v7
	v_mul_lo_u32 v7, v4, s23
	v_sub_nc_u32_e32 v19, v4, v8
	v_mul_lo_u32 v5, v20, s21
	s_delay_alu instid0(VALU_DEP_3) | instskip(NEXT) | instid1(VALU_DEP_2)
	v_sub_nc_u32_e32 v18, v1, v7
	v_sub_nc_u32_e32 v0, v0, v5
	s_delay_alu instid0(VALU_DEP_1)
	v_ashrrev_i32_e32 v1, 31, v0
	s_cbranch_vccnz .LBB2_14
; %bb.4:                                ;   in Loop: Header=BB2_3 Depth=1
	v_sub_nc_u32_e32 v4, 0, v0
	s_waitcnt lgkmcnt(0)
	v_mul_lo_u32 v8, s24, v20
	v_mul_lo_u32 v11, v17, s6
	;; [unrolled: 1-line block ×3, first 2 shown]
	s_mov_b32 s39, 0
	v_max_i32_e32 v4, v0, v4
	s_delay_alu instid0(VALU_DEP_4) | instskip(NEXT) | instid1(VALU_DEP_2)
	v_ashrrev_i32_e32 v9, 31, v8
	v_mul_hi_u32 v5, v4, v16
	v_subrev_nc_u32_e32 v21, s9, v11
	v_ashrrev_i32_e32 v11, 31, v10
	s_delay_alu instid0(VALU_DEP_4) | instskip(NEXT) | instid1(VALU_DEP_3)
	v_lshlrev_b64 v[8:9], 3, v[8:9]
	v_mul_lo_u32 v28, s61, v21
	s_delay_alu instid0(VALU_DEP_3) | instskip(SKIP_1) | instid1(VALU_DEP_3)
	v_lshlrev_b64 v[10:11], 3, v[10:11]
	v_mul_lo_u32 v6, v5, s60
	v_ashrrev_i32_e32 v29, 31, v28
	s_delay_alu instid0(VALU_DEP_2) | instskip(SKIP_1) | instid1(VALU_DEP_2)
	v_sub_nc_u32_e32 v4, v4, v6
	v_add_nc_u32_e32 v6, 1, v5
	v_subrev_nc_u32_e32 v7, s60, v4
	v_cmp_le_u32_e32 vcc_lo, s60, v4
	s_delay_alu instid0(VALU_DEP_2) | instskip(SKIP_1) | instid1(VALU_DEP_2)
	v_dual_cndmask_b32 v5, v5, v6 :: v_dual_cndmask_b32 v4, v4, v7
	v_xor_b32_e32 v7, s66, v1
	v_add_nc_u32_e32 v6, 1, v5
	s_delay_alu instid0(VALU_DEP_3) | instskip(NEXT) | instid1(VALU_DEP_2)
	v_cmp_le_u32_e32 vcc_lo, s60, v4
	v_cndmask_b32_e32 v4, v5, v6, vcc_lo
	v_mul_lo_u32 v5, v19, s4
	v_add_co_u32 v30, vcc_lo, s42, v8
	v_add_co_ci_u32_e32 v31, vcc_lo, s43, v9, vcc_lo
	s_delay_alu instid0(VALU_DEP_4) | instskip(NEXT) | instid1(VALU_DEP_4)
	v_xor_b32_e32 v4, v4, v7
	v_subrev_nc_u32_e32 v6, s7, v5
	s_delay_alu instid0(VALU_DEP_2) | instskip(SKIP_1) | instid1(VALU_DEP_3)
	v_sub_nc_u32_e32 v4, v4, v7
	v_mul_lo_u32 v7, v18, s5
	v_mul_lo_u32 v24, s26, v6
	s_delay_alu instid0(VALU_DEP_3)
	v_mul_lo_u32 v22, s25, v4
	v_mov_b32_e32 v4, 0
	v_mov_b32_e32 v5, 0
	v_subrev_nc_u32_e32 v7, s8, v7
	v_ashrrev_i32_e32 v25, 31, v24
	v_ashrrev_i32_e32 v23, 31, v22
	s_delay_alu instid0(VALU_DEP_3) | instskip(NEXT) | instid1(VALU_DEP_3)
	v_mul_lo_u32 v26, s27, v7
	v_lshlrev_b64 v[8:9], 3, v[24:25]
	s_delay_alu instid0(VALU_DEP_3) | instskip(NEXT) | instid1(VALU_DEP_3)
	v_lshlrev_b64 v[22:23], 3, v[22:23]
	v_ashrrev_i32_e32 v27, 31, v26
	s_delay_alu instid0(VALU_DEP_2) | instskip(NEXT) | instid1(VALU_DEP_3)
	v_add_co_u32 v24, vcc_lo, v30, v22
	v_add_co_ci_u32_e32 v25, vcc_lo, v31, v23, vcc_lo
	s_delay_alu instid0(VALU_DEP_3) | instskip(NEXT) | instid1(VALU_DEP_3)
	v_lshlrev_b64 v[22:23], 3, v[26:27]
	v_add_co_u32 v24, vcc_lo, v24, v8
	s_delay_alu instid0(VALU_DEP_3) | instskip(SKIP_1) | instid1(VALU_DEP_3)
	v_add_co_ci_u32_e32 v25, vcc_lo, v25, v9, vcc_lo
	v_lshlrev_b64 v[8:9], 3, v[28:29]
	v_add_co_u32 v22, vcc_lo, v24, v22
	s_delay_alu instid0(VALU_DEP_3) | instskip(NEXT) | instid1(VALU_DEP_2)
	v_add_co_ci_u32_e32 v23, vcc_lo, v25, v23, vcc_lo
	v_add_co_u32 v8, vcc_lo, v22, v8
	s_delay_alu instid0(VALU_DEP_2)
	v_add_co_ci_u32_e32 v9, vcc_lo, v23, v9, vcc_lo
	v_add_co_u32 v10, vcc_lo, s46, v10
	v_add_co_ci_u32_e32 v11, vcc_lo, s47, v11, vcc_lo
	s_branch .LBB2_6
.LBB2_5:                                ;   in Loop: Header=BB2_6 Depth=2
	s_set_inst_prefetch_distance 0x2
	v_add_co_u32 v8, vcc_lo, v8, s52
	v_add_co_ci_u32_e32 v9, vcc_lo, s53, v9, vcc_lo
	s_add_i32 s39, s39, 1
	s_delay_alu instid0(SALU_CYCLE_1)
	s_cmp_eq_u32 s39, s12
	s_cbranch_scc1 .LBB2_15
.LBB2_6:                                ;   Parent Loop BB2_3 Depth=1
                                        ; =>  This Loop Header: Depth=2
                                        ;       Child Loop BB2_9 Depth 3
                                        ;         Child Loop BB2_12 Depth 4
	s_and_not1_b32 vcc_lo, exec_lo, s54
	s_cbranch_vccnz .LBB2_5
; %bb.7:                                ;   in Loop: Header=BB2_6 Depth=2
	v_mad_u64_u32 v[22:23], null, s39, s10, v[6:7]
	s_mov_b32 s67, 0
	s_delay_alu instid0(VALU_DEP_1)
	v_cmp_lt_i32_e64 s0, -1, v22
	v_cmp_gt_i32_e64 s1, s17, v22
	s_set_inst_prefetch_distance 0x1
	s_branch .LBB2_9
	.p2align	6
.LBB2_8:                                ;   in Loop: Header=BB2_9 Depth=3
	v_add_co_u32 v8, vcc_lo, v8, s50
	v_add_co_ci_u32_e32 v9, vcc_lo, s51, v9, vcc_lo
	s_add_i32 s67, s67, 1
	s_delay_alu instid0(SALU_CYCLE_1)
	s_cmp_eq_u32 s67, s13
	s_cbranch_scc1 .LBB2_5
.LBB2_9:                                ;   Parent Loop BB2_3 Depth=1
                                        ;     Parent Loop BB2_6 Depth=2
                                        ; =>    This Loop Header: Depth=3
                                        ;         Child Loop BB2_12 Depth 4
	s_and_not1_b32 vcc_lo, exec_lo, s55
	s_cbranch_vccnz .LBB2_8
; %bb.10:                               ;   in Loop: Header=BB2_9 Depth=3
	v_mad_u64_u32 v[23:24], null, s67, s11, v[7:8]
	v_mov_b32_e32 v22, v21
	s_mov_b32 s69, s14
	s_delay_alu instid0(VALU_DEP_2) | instskip(SKIP_1) | instid1(VALU_DEP_2)
	v_cmp_lt_i32_e64 s2, -1, v23
	v_cmp_gt_i32_e32 vcc_lo, s18, v23
	s_and_b32 s68, s0, s2
	s_branch .LBB2_12
	.p2align	6
.LBB2_11:                               ;   in Loop: Header=BB2_12 Depth=4
	s_or_b32 exec_lo, exec_lo, s2
	v_add_co_u32 v10, s2, v10, 8
	s_delay_alu instid0(VALU_DEP_1) | instskip(SKIP_4) | instid1(SALU_CYCLE_1)
	v_add_co_ci_u32_e64 v11, s2, 0, v11, s2
	v_add_co_u32 v8, s2, v8, s48
	v_add_nc_u32_e32 v22, s38, v22
	v_add_co_ci_u32_e64 v9, s2, s49, v9, s2
	s_add_i32 s69, s69, -1
	s_cmp_eq_u32 s69, 0
	s_cbranch_scc1 .LBB2_8
.LBB2_12:                               ;   Parent Loop BB2_3 Depth=1
                                        ;     Parent Loop BB2_6 Depth=2
                                        ;       Parent Loop BB2_9 Depth=3
                                        ; =>      This Inner Loop Header: Depth=4
	v_cmp_lt_i32_e64 s2, -1, v22
	s_delay_alu instid0(VALU_DEP_1) | instskip(SKIP_2) | instid1(SALU_CYCLE_1)
	s_and_b32 s70, s68, s2
	v_cmp_gt_i32_e64 s2, s19, v22
	s_and_b32 s70, s70, s1
	s_and_b32 s70, s70, vcc_lo
	s_delay_alu instid0(VALU_DEP_1) | instid1(SALU_CYCLE_1)
	s_and_b32 s70, s70, s2
	s_delay_alu instid0(SALU_CYCLE_1)
	s_and_saveexec_b32 s2, s70
	s_cbranch_execz .LBB2_11
; %bb.13:                               ;   in Loop: Header=BB2_12 Depth=4
	global_load_b64 v[23:24], v[10:11], off
	global_load_b64 v[25:26], v[8:9], off
	s_waitcnt vmcnt(0)
	v_fma_f64 v[4:5], v[23:24], v[25:26], v[4:5]
	s_branch .LBB2_11
.LBB2_14:                               ;   in Loop: Header=BB2_3 Depth=1
	v_mov_b32_e32 v4, 0
	v_mov_b32_e32 v5, 0
.LBB2_15:                               ;   in Loop: Header=BB2_3 Depth=1
	s_and_b32 vcc_lo, exec_lo, s56
	s_cbranch_vccz .LBB2_2
; %bb.16:                               ;   in Loop: Header=BB2_3 Depth=1
	v_lshlrev_b64 v[6:7], 3, v[0:1]
	s_delay_alu instid0(VALU_DEP_1) | instskip(NEXT) | instid1(VALU_DEP_2)
	v_add_co_u32 v6, vcc_lo, s40, v6
	v_add_co_ci_u32_e32 v7, vcc_lo, s41, v7, vcc_lo
	global_load_b64 v[6:7], v[6:7], off
	s_waitcnt vmcnt(0)
	v_add_f64 v[4:5], v[4:5], v[6:7]
	s_branch .LBB2_2
.LBB2_17:
	s_nop 0
	s_sendmsg sendmsg(MSG_DEALLOC_VGPRS)
	s_endpgm
	.section	.rodata,"a",@progbits
	.p2align	6, 0x0
	.amdhsa_kernel _ZN2at6native12_GLOBAL__N_128conv_depthwise3d_cuda_kernelIddLin1ELin1ELin1ELin1ELin1ELin1EEEvN5torch10headeronly6detail27GenericPackedTensorAccessorINS5_14TensorAccessorIN3c108ArrayRefIlEEKT_Lm4ENS4_16DefaultPtrTraitsEiEENS_6detail16IndexBoundsCheckILm5EiEESC_Lm5ESD_iEENS6_INS7_ISA_SB_Lm4ESD_iEESH_SB_Lm5ESD_iEESI_PSC_iiiiiiiii
		.amdhsa_group_segment_fixed_size 0
		.amdhsa_private_segment_fixed_size 0
		.amdhsa_kernarg_size 448
		.amdhsa_user_sgpr_count 15
		.amdhsa_user_sgpr_dispatch_ptr 0
		.amdhsa_user_sgpr_queue_ptr 0
		.amdhsa_user_sgpr_kernarg_segment_ptr 1
		.amdhsa_user_sgpr_dispatch_id 0
		.amdhsa_user_sgpr_private_segment_size 0
		.amdhsa_wavefront_size32 1
		.amdhsa_uses_dynamic_stack 0
		.amdhsa_enable_private_segment 0
		.amdhsa_system_sgpr_workgroup_id_x 1
		.amdhsa_system_sgpr_workgroup_id_y 0
		.amdhsa_system_sgpr_workgroup_id_z 0
		.amdhsa_system_sgpr_workgroup_info 0
		.amdhsa_system_vgpr_workitem_id 0
		.amdhsa_next_free_vgpr 32
		.amdhsa_next_free_sgpr 71
		.amdhsa_reserve_vcc 1
		.amdhsa_float_round_mode_32 0
		.amdhsa_float_round_mode_16_64 0
		.amdhsa_float_denorm_mode_32 3
		.amdhsa_float_denorm_mode_16_64 3
		.amdhsa_dx10_clamp 1
		.amdhsa_ieee_mode 1
		.amdhsa_fp16_overflow 0
		.amdhsa_workgroup_processor_mode 1
		.amdhsa_memory_ordered 1
		.amdhsa_forward_progress 0
		.amdhsa_shared_vgpr_count 0
		.amdhsa_exception_fp_ieee_invalid_op 0
		.amdhsa_exception_fp_denorm_src 0
		.amdhsa_exception_fp_ieee_div_zero 0
		.amdhsa_exception_fp_ieee_overflow 0
		.amdhsa_exception_fp_ieee_underflow 0
		.amdhsa_exception_fp_ieee_inexact 0
		.amdhsa_exception_int_div_zero 0
	.end_amdhsa_kernel
	.section	.text._ZN2at6native12_GLOBAL__N_128conv_depthwise3d_cuda_kernelIddLin1ELin1ELin1ELin1ELin1ELin1EEEvN5torch10headeronly6detail27GenericPackedTensorAccessorINS5_14TensorAccessorIN3c108ArrayRefIlEEKT_Lm4ENS4_16DefaultPtrTraitsEiEENS_6detail16IndexBoundsCheckILm5EiEESC_Lm5ESD_iEENS6_INS7_ISA_SB_Lm4ESD_iEESH_SB_Lm5ESD_iEESI_PSC_iiiiiiiii,"axG",@progbits,_ZN2at6native12_GLOBAL__N_128conv_depthwise3d_cuda_kernelIddLin1ELin1ELin1ELin1ELin1ELin1EEEvN5torch10headeronly6detail27GenericPackedTensorAccessorINS5_14TensorAccessorIN3c108ArrayRefIlEEKT_Lm4ENS4_16DefaultPtrTraitsEiEENS_6detail16IndexBoundsCheckILm5EiEESC_Lm5ESD_iEENS6_INS7_ISA_SB_Lm4ESD_iEESH_SB_Lm5ESD_iEESI_PSC_iiiiiiiii,comdat
.Lfunc_end2:
	.size	_ZN2at6native12_GLOBAL__N_128conv_depthwise3d_cuda_kernelIddLin1ELin1ELin1ELin1ELin1ELin1EEEvN5torch10headeronly6detail27GenericPackedTensorAccessorINS5_14TensorAccessorIN3c108ArrayRefIlEEKT_Lm4ENS4_16DefaultPtrTraitsEiEENS_6detail16IndexBoundsCheckILm5EiEESC_Lm5ESD_iEENS6_INS7_ISA_SB_Lm4ESD_iEESH_SB_Lm5ESD_iEESI_PSC_iiiiiiiii, .Lfunc_end2-_ZN2at6native12_GLOBAL__N_128conv_depthwise3d_cuda_kernelIddLin1ELin1ELin1ELin1ELin1ELin1EEEvN5torch10headeronly6detail27GenericPackedTensorAccessorINS5_14TensorAccessorIN3c108ArrayRefIlEEKT_Lm4ENS4_16DefaultPtrTraitsEiEENS_6detail16IndexBoundsCheckILm5EiEESC_Lm5ESD_iEENS6_INS7_ISA_SB_Lm4ESD_iEESH_SB_Lm5ESD_iEESI_PSC_iiiiiiiii
                                        ; -- End function
	.section	.AMDGPU.csdata,"",@progbits
; Kernel info:
; codeLenInByte = 2160
; NumSgprs: 73
; NumVgprs: 32
; ScratchSize: 0
; MemoryBound: 1
; FloatMode: 240
; IeeeMode: 1
; LDSByteSize: 0 bytes/workgroup (compile time only)
; SGPRBlocks: 9
; VGPRBlocks: 3
; NumSGPRsForWavesPerEU: 73
; NumVGPRsForWavesPerEU: 32
; Occupancy: 16
; WaveLimiterHint : 0
; COMPUTE_PGM_RSRC2:SCRATCH_EN: 0
; COMPUTE_PGM_RSRC2:USER_SGPR: 15
; COMPUTE_PGM_RSRC2:TRAP_HANDLER: 0
; COMPUTE_PGM_RSRC2:TGID_X_EN: 1
; COMPUTE_PGM_RSRC2:TGID_Y_EN: 0
; COMPUTE_PGM_RSRC2:TGID_Z_EN: 0
; COMPUTE_PGM_RSRC2:TIDIG_COMP_CNT: 0
	.section	.text._ZN2at6native12_GLOBAL__N_128conv_depthwise3d_cuda_kernelIffLi3ELi3ELi3ELi1ELi1ELi1EEEvN5torch10headeronly6detail27GenericPackedTensorAccessorINS5_14TensorAccessorIN3c108ArrayRefIlEEKT_Lm4ENS4_16DefaultPtrTraitsEiEENS_6detail16IndexBoundsCheckILm5EiEESC_Lm5ESD_iEENS6_INS7_ISA_SB_Lm4ESD_iEESH_SB_Lm5ESD_iEESI_PSC_iiiiiiiii,"axG",@progbits,_ZN2at6native12_GLOBAL__N_128conv_depthwise3d_cuda_kernelIffLi3ELi3ELi3ELi1ELi1ELi1EEEvN5torch10headeronly6detail27GenericPackedTensorAccessorINS5_14TensorAccessorIN3c108ArrayRefIlEEKT_Lm4ENS4_16DefaultPtrTraitsEiEENS_6detail16IndexBoundsCheckILm5EiEESC_Lm5ESD_iEENS6_INS7_ISA_SB_Lm4ESD_iEESH_SB_Lm5ESD_iEESI_PSC_iiiiiiiii,comdat
	.globl	_ZN2at6native12_GLOBAL__N_128conv_depthwise3d_cuda_kernelIffLi3ELi3ELi3ELi1ELi1ELi1EEEvN5torch10headeronly6detail27GenericPackedTensorAccessorINS5_14TensorAccessorIN3c108ArrayRefIlEEKT_Lm4ENS4_16DefaultPtrTraitsEiEENS_6detail16IndexBoundsCheckILm5EiEESC_Lm5ESD_iEENS6_INS7_ISA_SB_Lm4ESD_iEESH_SB_Lm5ESD_iEESI_PSC_iiiiiiiii ; -- Begin function _ZN2at6native12_GLOBAL__N_128conv_depthwise3d_cuda_kernelIffLi3ELi3ELi3ELi1ELi1ELi1EEEvN5torch10headeronly6detail27GenericPackedTensorAccessorINS5_14TensorAccessorIN3c108ArrayRefIlEEKT_Lm4ENS4_16DefaultPtrTraitsEiEENS_6detail16IndexBoundsCheckILm5EiEESC_Lm5ESD_iEENS6_INS7_ISA_SB_Lm4ESD_iEESH_SB_Lm5ESD_iEESI_PSC_iiiiiiiii
	.p2align	8
	.type	_ZN2at6native12_GLOBAL__N_128conv_depthwise3d_cuda_kernelIffLi3ELi3ELi3ELi1ELi1ELi1EEEvN5torch10headeronly6detail27GenericPackedTensorAccessorINS5_14TensorAccessorIN3c108ArrayRefIlEEKT_Lm4ENS4_16DefaultPtrTraitsEiEENS_6detail16IndexBoundsCheckILm5EiEESC_Lm5ESD_iEENS6_INS7_ISA_SB_Lm4ESD_iEESH_SB_Lm5ESD_iEESI_PSC_iiiiiiiii,@function
_ZN2at6native12_GLOBAL__N_128conv_depthwise3d_cuda_kernelIffLi3ELi3ELi3ELi1ELi1ELi1EEEvN5torch10headeronly6detail27GenericPackedTensorAccessorINS5_14TensorAccessorIN3c108ArrayRefIlEEKT_Lm4ENS4_16DefaultPtrTraitsEiEENS_6detail16IndexBoundsCheckILm5EiEESC_Lm5ESD_iEENS6_INS7_ISA_SB_Lm4ESD_iEESH_SB_Lm5ESD_iEESI_PSC_iiiiiiiii: ; @_ZN2at6native12_GLOBAL__N_128conv_depthwise3d_cuda_kernelIffLi3ELi3ELi3ELi1ELi1ELi1EEEvN5torch10headeronly6detail27GenericPackedTensorAccessorINS5_14TensorAccessorIN3c108ArrayRefIlEEKT_Lm4ENS4_16DefaultPtrTraitsEiEENS_6detail16IndexBoundsCheckILm5EiEESC_Lm5ESD_iEENS6_INS7_ISA_SB_Lm4ESD_iEESH_SB_Lm5ESD_iEESI_PSC_iiiiiiiii
; %bb.0:
	s_clause 0x3
	s_load_b128 s[16:19], s[0:1], 0xc
	s_load_b64 s[34:35], s[0:1], 0x48
	s_load_b32 s3, s[0:1], 0xcc
	s_load_b128 s[20:23], s[0:1], 0x38
	v_mov_b32_e32 v7, 0
	s_mov_b32 s7, exec_lo
	s_waitcnt lgkmcnt(0)
	s_abs_i32 s2, s16
	s_add_u32 s4, s0, 0xc0
	v_cvt_f32_u32_e32 v1, s2
	s_addc_u32 s5, s1, 0
	s_and_b32 s6, s3, 0xffff
	s_mul_i32 s14, s35, s20
	s_mul_i32 s33, s6, s15
	v_rcp_iflag_f32_e32 v1, v1
	s_mul_hi_u32 s20, s6, s15
	s_ashr_i32 s15, s14, 31
	s_waitcnt_depctr 0xfff
	v_mul_f32_e32 v3, 0x4f7ffffe, v1
	v_add_co_u32 v1, s3, s33, v0
	s_delay_alu instid0(VALU_DEP_1) | instskip(NEXT) | instid1(VALU_DEP_3)
	v_add_co_ci_u32_e64 v2, null, s20, 0, s3
	v_cvt_u32_f32_e32 v3, v3
	s_delay_alu instid0(VALU_DEP_1) | instskip(NEXT) | instid1(VALU_DEP_3)
	v_readfirstlane_b32 s3, v3
	v_cmpx_gt_i64_e64 s[14:15], v[1:2]
	s_cbranch_execz .LBB3_59
; %bb.1:
	s_sub_i32 s7, 0, s2
	s_abs_i32 s54, s21
	s_mul_i32 s7, s7, s3
	s_load_b64 s[40:41], s[0:1], 0x90
	s_mul_hi_u32 s7, s3, s7
	s_ashr_i32 s55, s21, 31
	s_add_i32 s3, s3, s7
	s_ashr_i32 s7, s16, 31
	s_load_b32 s16, s[0:1], 0x7c
	s_mul_hi_u32 s3, s54, s3
	s_xor_b32 s7, s55, s7
	s_mul_i32 s8, s3, s2
	s_add_i32 s9, s3, 1
	s_sub_i32 s8, s54, s8
	v_cvt_f32_u32_e32 v4, s54
	s_sub_i32 s10, s8, s2
	s_cmp_ge_u32 s8, s2
	s_clause 0x1
	s_load_b128 s[24:27], s[0:1], 0x98
	s_load_b64 s[42:43], s[0:1], 0xa8
	s_load_b32 s4, s[4:5], 0x0
	s_cselect_b32 s3, s9, s3
	s_cselect_b32 s8, s10, s8
	s_add_i32 s9, s3, 1
	s_cmp_ge_u32 s8, s2
	v_rcp_iflag_f32_e32 v4, v4
	s_cselect_b32 s2, s9, s3
	s_add_i32 s3, s18, -3
	s_xor_b32 s8, s2, s7
	s_mul_i32 s2, s19, s3
	s_sub_i32 s7, s8, s7
	s_ashr_i32 s3, s2, 31
	s_waitcnt lgkmcnt(0)
	s_cmp_lg_u64 s[40:41], 0
	s_clause 0x1
	s_load_b64 s[44:45], s[0:1], 0x0
	s_load_b128 s[28:31], s[0:1], 0x1c
	s_cselect_b32 s56, -1, 0
	s_abs_i32 s57, s34
	s_abs_i32 s59, s23
	v_cvt_f32_u32_e32 v1, s57
	v_cvt_f32_u32_e32 v2, s59
	s_abs_i32 s60, s22
	s_abs_i32 s61, s7
	v_cvt_f32_u32_e32 v3, s60
	v_rcp_iflag_f32_e32 v1, v1
	v_rcp_iflag_f32_e32 v2, v2
	v_cvt_f32_u32_e32 v5, s61
	s_sub_i32 s5, 0, s57
	v_rcp_iflag_f32_e32 v3, v3
	s_clause 0x3
	s_load_b32 s62, s[0:1], 0x2c
	s_load_b64 s[46:47], s[0:1], 0x30
	s_load_b64 s[48:49], s[0:1], 0x60
	s_load_b128 s[36:39], s[0:1], 0x50
	v_rcp_iflag_f32_e32 v5, v5
	s_sub_i32 s0, 0, s59
	v_dual_mul_f32 v4, 0x4f7ffffe, v4 :: v_dual_mul_f32 v1, 0x4f7ffffe, v1
	v_mul_f32_e32 v2, 0x4f7ffffe, v2
	s_sub_i32 s1, 0, s61
	s_mov_b32 s58, 0
	s_waitcnt_depctr 0xfff
	v_mul_f32_e32 v3, 0x4f7ffffe, v3
	v_cvt_u32_f32_e32 v1, v1
	v_cvt_u32_f32_e32 v2, v2
	;; [unrolled: 1-line block ×3, first 2 shown]
	s_mul_i32 s63, s4, s6
	v_cvt_u32_f32_e32 v3, v3
	v_mul_lo_u32 v6, s5, v1
	v_mul_lo_u32 v8, s0, v2
	s_sub_i32 s0, 0, s60
	s_ashr_i32 s64, s34, 31
	v_mul_lo_u32 v9, s0, v3
	s_sub_i32 s0, 0, s54
	s_ashr_i32 s65, s23, 31
	v_mul_lo_u32 v10, s0, v4
	v_mul_hi_u32 v6, v1, v6
	v_mul_f32_e32 v5, 0x4f7ffffe, v5
	v_mul_hi_u32 v12, v2, v8
	s_mov_b32 s0, s19
	v_mul_hi_u32 v13, v3, v9
	s_ashr_i32 s66, s22, 31
	s_ashr_i32 s67, s7, 31
	v_mul_hi_u32 v14, v4, v10
	v_add_nc_u32_e32 v8, v1, v6
	v_cvt_u32_f32_e32 v5, v5
	v_add_nc_u32_e32 v9, v2, v12
	s_lshl_b64 s[52:53], s[2:3], 2
	v_add_nc_u32_e32 v10, v3, v13
	s_delay_alu instid0(VALU_DEP_3) | instskip(SKIP_1) | instid1(SALU_CYCLE_1)
	v_mul_lo_u32 v11, s1, v5
	s_ashr_i32 s1, s19, 31
	s_lshl_b64 s[50:51], s[0:1], 2
	s_delay_alu instid0(VALU_DEP_1) | instskip(SKIP_1) | instid1(VALU_DEP_2)
	v_mul_hi_u32 v15, v5, v11
	v_add_nc_u32_e32 v11, v4, v14
	v_add_nc_u32_e32 v12, v5, v15
	s_branch .LBB3_3
.LBB3_2:                                ;   in Loop: Header=BB3_3 Depth=1
	v_mul_lo_u32 v2, v14, s35
	v_mul_lo_u32 v4, s36, v1
	;; [unrolled: 1-line block ×4, first 2 shown]
	v_add_co_u32 v0, vcc_lo, v0, s63
	v_add_co_ci_u32_e32 v7, vcc_lo, 0, v7, vcc_lo
	v_ashrrev_i32_e32 v3, 31, v2
	v_ashrrev_i32_e32 v5, 31, v4
	v_mul_lo_u32 v18, s39, v13
	v_ashrrev_i32_e32 v15, 31, v14
	s_delay_alu instid0(VALU_DEP_4) | instskip(SKIP_3) | instid1(VALU_DEP_4)
	v_lshlrev_b64 v[20:21], 2, v[2:3]
	v_ashrrev_i32_e32 v2, 31, v1
	v_lshlrev_b64 v[3:4], 2, v[4:5]
	v_ashrrev_i32_e32 v19, 31, v18
	v_add_co_u32 v5, vcc_lo, s46, v20
	v_add_co_ci_u32_e32 v6, vcc_lo, s47, v21, vcc_lo
	v_lshlrev_b64 v[1:2], 2, v[1:2]
	s_delay_alu instid0(VALU_DEP_3) | instskip(NEXT) | instid1(VALU_DEP_3)
	v_add_co_u32 v5, vcc_lo, v5, v3
	v_add_co_ci_u32_e32 v6, vcc_lo, v6, v4, vcc_lo
	v_lshlrev_b64 v[3:4], 2, v[14:15]
	s_delay_alu instid0(VALU_DEP_3) | instskip(NEXT) | instid1(VALU_DEP_3)
	v_add_co_u32 v13, vcc_lo, v5, v1
	v_add_co_ci_u32_e32 v14, vcc_lo, v6, v2, vcc_lo
	v_add_co_u32 v5, vcc_lo, s33, v0
	v_lshlrev_b64 v[1:2], 2, v[18:19]
	v_add_co_ci_u32_e32 v6, vcc_lo, s20, v7, vcc_lo
	v_add_co_u32 v3, vcc_lo, v13, v3
	v_add_co_ci_u32_e32 v4, vcc_lo, v14, v4, vcc_lo
	s_delay_alu instid0(VALU_DEP_3) | instskip(NEXT) | instid1(VALU_DEP_3)
	v_cmp_le_i64_e32 vcc_lo, s[14:15], v[5:6]
	v_add_co_u32 v1, s0, v3, v1
	s_delay_alu instid0(VALU_DEP_1)
	v_add_co_ci_u32_e64 v2, s0, v4, v2, s0
	s_or_b32 s58, vcc_lo, s58
	global_store_b32 v[1:2], v17, off
	s_and_not1_b32 exec_lo, exec_lo, s58
	s_cbranch_execz .LBB3_59
.LBB3_3:                                ; =>This Inner Loop Header: Depth=1
	v_add_nc_u32_e32 v2, s33, v0
	s_delay_alu instid0(VALU_DEP_1) | instskip(NEXT) | instid1(VALU_DEP_1)
	v_sub_nc_u32_e32 v1, 0, v2
	v_max_i32_e32 v1, v2, v1
	s_delay_alu instid0(VALU_DEP_1) | instskip(NEXT) | instid1(VALU_DEP_1)
	v_mul_hi_u32 v3, v1, v8
	v_mul_lo_u32 v4, v3, s57
	s_delay_alu instid0(VALU_DEP_1) | instskip(SKIP_1) | instid1(VALU_DEP_2)
	v_sub_nc_u32_e32 v1, v1, v4
	v_add_nc_u32_e32 v4, 1, v3
	v_subrev_nc_u32_e32 v5, s57, v1
	v_cmp_le_u32_e32 vcc_lo, s57, v1
	s_delay_alu instid0(VALU_DEP_3) | instskip(NEXT) | instid1(VALU_DEP_3)
	v_cndmask_b32_e32 v3, v3, v4, vcc_lo
	v_cndmask_b32_e32 v1, v1, v5, vcc_lo
	v_ashrrev_i32_e32 v4, 31, v2
	s_delay_alu instid0(VALU_DEP_3) | instskip(NEXT) | instid1(VALU_DEP_3)
	v_add_nc_u32_e32 v5, 1, v3
	v_cmp_le_u32_e32 vcc_lo, s57, v1
	s_delay_alu instid0(VALU_DEP_3) | instskip(NEXT) | instid1(VALU_DEP_3)
	v_xor_b32_e32 v4, s64, v4
	v_cndmask_b32_e32 v1, v3, v5, vcc_lo
	s_delay_alu instid0(VALU_DEP_1) | instskip(NEXT) | instid1(VALU_DEP_1)
	v_xor_b32_e32 v1, v1, v4
	v_sub_nc_u32_e32 v3, v1, v4
	s_delay_alu instid0(VALU_DEP_1) | instskip(NEXT) | instid1(VALU_DEP_1)
	v_sub_nc_u32_e32 v1, 0, v3
	v_max_i32_e32 v1, v3, v1
	s_delay_alu instid0(VALU_DEP_1) | instskip(NEXT) | instid1(VALU_DEP_1)
	v_mul_hi_u32 v4, v1, v9
	v_mul_lo_u32 v5, v4, s59
	s_delay_alu instid0(VALU_DEP_1) | instskip(SKIP_1) | instid1(VALU_DEP_2)
	v_sub_nc_u32_e32 v1, v1, v5
	v_add_nc_u32_e32 v5, 1, v4
	v_subrev_nc_u32_e32 v6, s59, v1
	v_cmp_le_u32_e32 vcc_lo, s59, v1
	s_delay_alu instid0(VALU_DEP_2) | instskip(SKIP_1) | instid1(VALU_DEP_2)
	v_dual_cndmask_b32 v4, v4, v5 :: v_dual_cndmask_b32 v1, v1, v6
	v_ashrrev_i32_e32 v5, 31, v3
	v_add_nc_u32_e32 v6, 1, v4
	s_delay_alu instid0(VALU_DEP_3) | instskip(NEXT) | instid1(VALU_DEP_3)
	v_cmp_le_u32_e32 vcc_lo, s59, v1
	v_xor_b32_e32 v5, s65, v5
	s_delay_alu instid0(VALU_DEP_3) | instskip(NEXT) | instid1(VALU_DEP_1)
	v_cndmask_b32_e32 v1, v4, v6, vcc_lo
	v_xor_b32_e32 v1, v1, v5
	s_delay_alu instid0(VALU_DEP_1) | instskip(NEXT) | instid1(VALU_DEP_1)
	v_sub_nc_u32_e32 v4, v1, v5
	v_sub_nc_u32_e32 v1, 0, v4
	s_delay_alu instid0(VALU_DEP_1) | instskip(NEXT) | instid1(VALU_DEP_1)
	v_max_i32_e32 v1, v4, v1
	v_mul_hi_u32 v5, v1, v10
	s_delay_alu instid0(VALU_DEP_1) | instskip(NEXT) | instid1(VALU_DEP_1)
	v_mul_lo_u32 v6, v5, s60
	v_sub_nc_u32_e32 v1, v1, v6
	v_add_nc_u32_e32 v6, 1, v5
	s_delay_alu instid0(VALU_DEP_2) | instskip(SKIP_1) | instid1(VALU_DEP_3)
	v_subrev_nc_u32_e32 v13, s60, v1
	v_cmp_le_u32_e32 vcc_lo, s60, v1
	v_cndmask_b32_e32 v5, v5, v6, vcc_lo
	s_delay_alu instid0(VALU_DEP_3) | instskip(SKIP_1) | instid1(VALU_DEP_3)
	v_cndmask_b32_e32 v1, v1, v13, vcc_lo
	v_ashrrev_i32_e32 v6, 31, v4
	v_add_nc_u32_e32 v13, 1, v5
	s_delay_alu instid0(VALU_DEP_3) | instskip(NEXT) | instid1(VALU_DEP_3)
	v_cmp_le_u32_e32 vcc_lo, s60, v1
	v_xor_b32_e32 v6, s66, v6
	s_delay_alu instid0(VALU_DEP_3) | instskip(NEXT) | instid1(VALU_DEP_1)
	v_cndmask_b32_e32 v1, v5, v13, vcc_lo
	v_xor_b32_e32 v1, v1, v6
	s_delay_alu instid0(VALU_DEP_1) | instskip(NEXT) | instid1(VALU_DEP_1)
	v_sub_nc_u32_e32 v5, v1, v6
	v_sub_nc_u32_e32 v1, 0, v5
	s_delay_alu instid0(VALU_DEP_1) | instskip(NEXT) | instid1(VALU_DEP_1)
	v_max_i32_e32 v1, v5, v1
	v_mul_hi_u32 v6, v1, v11
	s_delay_alu instid0(VALU_DEP_1) | instskip(NEXT) | instid1(VALU_DEP_1)
	v_mul_lo_u32 v13, v6, s54
	v_sub_nc_u32_e32 v1, v1, v13
	v_add_nc_u32_e32 v13, 1, v6
	s_delay_alu instid0(VALU_DEP_2) | instskip(SKIP_1) | instid1(VALU_DEP_2)
	v_subrev_nc_u32_e32 v14, s54, v1
	v_cmp_le_u32_e32 vcc_lo, s54, v1
	v_dual_cndmask_b32 v6, v6, v13 :: v_dual_cndmask_b32 v1, v1, v14
	v_ashrrev_i32_e32 v13, 31, v5
	s_delay_alu instid0(VALU_DEP_2) | instskip(NEXT) | instid1(VALU_DEP_3)
	v_add_nc_u32_e32 v14, 1, v6
	v_cmp_le_u32_e32 vcc_lo, s54, v1
	s_delay_alu instid0(VALU_DEP_3) | instskip(NEXT) | instid1(VALU_DEP_3)
	v_xor_b32_e32 v13, s55, v13
	v_cndmask_b32_e32 v1, v6, v14, vcc_lo
	s_delay_alu instid0(VALU_DEP_1) | instskip(NEXT) | instid1(VALU_DEP_1)
	v_xor_b32_e32 v1, v1, v13
	v_sub_nc_u32_e32 v14, v1, v13
	v_mul_lo_u32 v13, v3, s34
	s_delay_alu instid0(VALU_DEP_2) | instskip(NEXT) | instid1(VALU_DEP_2)
	v_mul_lo_u32 v1, v14, s21
	v_sub_nc_u32_e32 v13, v2, v13
	v_mul_lo_u32 v2, v4, s23
	s_delay_alu instid0(VALU_DEP_3) | instskip(NEXT) | instid1(VALU_DEP_3)
	v_sub_nc_u32_e32 v1, v5, v1
	v_mul_lo_u32 v18, v13, s26
	v_mul_lo_u32 v5, v5, s22
	s_delay_alu instid0(VALU_DEP_3) | instskip(SKIP_3) | instid1(VALU_DEP_4)
	v_sub_nc_u32_e32 v6, 0, v1
	v_sub_nc_u32_e32 v15, v3, v2
	v_mul_lo_u32 v27, s16, v1
	v_subrev_nc_u32_e32 v20, s43, v18
	v_max_i32_e32 v6, v1, v6
	s_waitcnt lgkmcnt(0)
	s_delay_alu instid0(VALU_DEP_2) | instskip(NEXT) | instid1(VALU_DEP_2)
	v_mul_lo_u32 v3, s62, v20
	v_mul_hi_u32 v16, v6, v12
	v_cmp_lt_i32_e64 s0, -1, v20
	s_delay_alu instid0(VALU_DEP_2) | instskip(SKIP_1) | instid1(VALU_DEP_2)
	v_mul_lo_u32 v17, v16, s61
	v_add_nc_u32_e32 v2, 1, v16
	v_sub_nc_u32_e32 v6, v6, v17
	v_mul_lo_u32 v17, v15, s25
	s_delay_alu instid0(VALU_DEP_2) | instskip(SKIP_1) | instid1(VALU_DEP_3)
	v_subrev_nc_u32_e32 v18, s61, v6
	v_cmp_le_u32_e32 vcc_lo, s61, v6
	v_subrev_nc_u32_e32 v19, s42, v17
	v_cndmask_b32_e32 v21, v16, v2, vcc_lo
	s_delay_alu instid0(VALU_DEP_4)
	v_cndmask_b32_e32 v6, v6, v18, vcc_lo
	v_ashrrev_i32_e32 v2, 31, v1
	v_sub_nc_u32_e32 v16, v4, v5
	v_ashrrev_i32_e32 v4, 31, v3
	v_add_nc_u32_e32 v18, 1, v21
	v_cmp_le_u32_e32 vcc_lo, s61, v6
	v_xor_b32_e32 v17, s67, v2
	v_cmp_lt_i32_e64 s6, -1, v19
	v_mul_lo_u32 v5, s31, v19
	v_cmp_gt_i32_e64 s5, s18, v19
	v_cndmask_b32_e32 v6, v21, v18, vcc_lo
	v_mul_lo_u32 v18, v16, s24
	v_lshlrev_b64 v[21:22], 2, v[3:4]
	v_mul_lo_u32 v3, s28, v14
	v_cmp_gt_i32_e32 vcc_lo, s19, v20
	v_xor_b32_e32 v6, v6, v17
	v_subrev_nc_u32_e32 v18, s27, v18
	s_delay_alu instid0(VALU_DEP_2) | instskip(SKIP_1) | instid1(VALU_DEP_3)
	v_sub_nc_u32_e32 v4, v6, v17
	v_ashrrev_i32_e32 v6, 31, v5
	v_cmp_lt_i32_e64 s8, -1, v18
	s_delay_alu instid0(VALU_DEP_3)
	v_mul_lo_u32 v23, s29, v4
	v_ashrrev_i32_e32 v4, 31, v3
	v_mul_lo_u32 v25, s30, v18
	v_cmp_gt_i32_e64 s11, s17, v18
	s_and_b32 s4, s8, s6
	v_lshlrev_b64 v[5:6], 2, v[5:6]
	v_lshlrev_b64 v[3:4], 2, v[3:4]
	s_and_b32 s1, s4, s0
	v_ashrrev_i32_e32 v24, 31, v23
	s_and_b32 s2, s1, s11
	v_ashrrev_i32_e32 v26, 31, v25
	s_delay_alu instid0(VALU_DEP_3) | instskip(NEXT) | instid1(VALU_DEP_3)
	v_add_co_u32 v17, s1, s44, v3
	v_lshlrev_b64 v[23:24], 2, v[23:24]
	v_add_co_ci_u32_e64 v28, s1, s45, v4, s1
	s_delay_alu instid0(VALU_DEP_4) | instskip(NEXT) | instid1(VALU_DEP_3)
	v_lshlrev_b64 v[3:4], 2, v[25:26]
	v_add_co_u32 v17, s1, v17, v23
	s_delay_alu instid0(VALU_DEP_1) | instskip(SKIP_1) | instid1(VALU_DEP_3)
	v_add_co_ci_u32_e64 v23, s1, v28, v24, s1
	v_ashrrev_i32_e32 v28, 31, v27
	v_add_co_u32 v17, s1, v17, v3
	s_delay_alu instid0(VALU_DEP_1) | instskip(NEXT) | instid1(VALU_DEP_3)
	v_add_co_ci_u32_e64 v23, s1, v23, v4, s1
	v_lshlrev_b64 v[3:4], 2, v[27:28]
	s_delay_alu instid0(VALU_DEP_3) | instskip(NEXT) | instid1(VALU_DEP_1)
	v_add_co_u32 v5, s1, v17, v5
	v_add_co_ci_u32_e64 v6, s1, v23, v6, s1
	v_mov_b32_e32 v17, 0
	s_delay_alu instid0(VALU_DEP_4) | instskip(NEXT) | instid1(VALU_DEP_1)
	v_add_co_u32 v3, s1, s48, v3
	v_add_co_ci_u32_e64 v4, s1, s49, v4, s1
	v_add_co_u32 v5, s1, v5, v21
	s_delay_alu instid0(VALU_DEP_1) | instskip(SKIP_1) | instid1(SALU_CYCLE_1)
	v_add_co_ci_u32_e64 v6, s1, v6, v22, s1
	s_and_b32 s1, s2, s5
	s_and_b32 s2, s1, vcc_lo
	s_delay_alu instid0(SALU_CYCLE_1)
	s_and_saveexec_b32 s1, s2
	s_cbranch_execz .LBB3_5
; %bb.4:                                ;   in Loop: Header=BB3_3 Depth=1
	global_load_b32 v17, v[3:4], off
	global_load_b32 v21, v[5:6], off
	s_waitcnt vmcnt(0)
	v_fma_f32 v17, v17, v21, 0
.LBB3_5:                                ;   in Loop: Header=BB3_3 Depth=1
	s_or_b32 exec_lo, exec_lo, s1
	v_cmp_lt_i32_e64 s1, -2, v20
	v_add_nc_u32_e32 v21, 1, v20
	s_delay_alu instid0(VALU_DEP_2) | instskip(NEXT) | instid1(VALU_DEP_1)
	s_and_b32 s3, s4, s1
	v_cmp_gt_i32_e64 s2, s19, v21
	s_and_b32 s3, s3, s11
	s_delay_alu instid0(SALU_CYCLE_1)
	s_and_b32 s3, s3, s5
	s_delay_alu instid0(VALU_DEP_1) | instid1(SALU_CYCLE_1)
	s_and_b32 s7, s3, s2
	s_delay_alu instid0(SALU_CYCLE_1)
	s_and_saveexec_b32 s3, s7
	s_cbranch_execz .LBB3_7
; %bb.6:                                ;   in Loop: Header=BB3_3 Depth=1
	global_load_b32 v21, v[3:4], off offset:4
	global_load_b32 v22, v[5:6], off offset:4
	s_waitcnt vmcnt(0)
	v_fmac_f32_e32 v17, v21, v22
.LBB3_7:                                ;   in Loop: Header=BB3_3 Depth=1
	s_or_b32 exec_lo, exec_lo, s3
	v_cmp_lt_i32_e64 s3, -3, v20
	v_add_nc_u32_e32 v20, 2, v20
	s_delay_alu instid0(VALU_DEP_2) | instskip(NEXT) | instid1(VALU_DEP_1)
	s_and_b32 s7, s4, s3
	v_cmp_gt_i32_e64 s4, s19, v20
	s_and_b32 s7, s7, s11
	s_delay_alu instid0(SALU_CYCLE_1)
	s_and_b32 s7, s7, s5
	s_delay_alu instid0(VALU_DEP_1) | instid1(SALU_CYCLE_1)
	s_and_b32 s9, s7, s4
	s_delay_alu instid0(SALU_CYCLE_1)
	s_and_saveexec_b32 s7, s9
	s_cbranch_execz .LBB3_9
; %bb.8:                                ;   in Loop: Header=BB3_3 Depth=1
	global_load_b32 v20, v[3:4], off offset:8
	global_load_b32 v21, v[5:6], off offset:8
	s_waitcnt vmcnt(0)
	v_fmac_f32_e32 v17, v20, v21
.LBB3_9:                                ;   in Loop: Header=BB3_3 Depth=1
	s_or_b32 exec_lo, exec_lo, s7
	v_cmp_lt_i32_e64 s9, -2, v19
	v_add_nc_u32_e32 v20, 1, v19
	s_delay_alu instid0(VALU_DEP_2) | instskip(NEXT) | instid1(VALU_DEP_1)
	s_and_b32 s12, s8, s9
	v_cmp_gt_i32_e64 s7, s18, v20
	s_and_b32 s10, s12, s0
	s_delay_alu instid0(SALU_CYCLE_1) | instskip(SKIP_1) | instid1(VALU_DEP_1)
	s_and_b32 s13, s10, s11
	v_add_co_u32 v5, s10, v5, s50
	v_add_co_ci_u32_e64 v6, s10, s51, v6, s10
	s_and_b32 s10, s13, s7
	s_delay_alu instid0(SALU_CYCLE_1) | instskip(NEXT) | instid1(SALU_CYCLE_1)
	s_and_b32 s13, s10, vcc_lo
	s_and_saveexec_b32 s10, s13
	s_cbranch_execz .LBB3_11
; %bb.10:                               ;   in Loop: Header=BB3_3 Depth=1
	global_load_b32 v20, v[3:4], off offset:12
	global_load_b32 v21, v[5:6], off
	s_waitcnt vmcnt(0)
	v_fmac_f32_e32 v17, v20, v21
.LBB3_11:                               ;   in Loop: Header=BB3_3 Depth=1
	s_or_b32 exec_lo, exec_lo, s10
	s_and_b32 s10, s12, s1
	s_delay_alu instid0(SALU_CYCLE_1) | instskip(NEXT) | instid1(SALU_CYCLE_1)
	s_and_b32 s10, s10, s11
	s_and_b32 s10, s10, s7
	s_delay_alu instid0(SALU_CYCLE_1) | instskip(NEXT) | instid1(SALU_CYCLE_1)
	s_and_b32 s13, s10, s2
	s_and_saveexec_b32 s10, s13
	s_cbranch_execz .LBB3_13
; %bb.12:                               ;   in Loop: Header=BB3_3 Depth=1
	global_load_b32 v20, v[3:4], off offset:16
	global_load_b32 v21, v[5:6], off offset:4
	s_waitcnt vmcnt(0)
	v_fmac_f32_e32 v17, v20, v21
.LBB3_13:                               ;   in Loop: Header=BB3_3 Depth=1
	s_or_b32 exec_lo, exec_lo, s10
	s_and_b32 s10, s12, s3
	s_delay_alu instid0(SALU_CYCLE_1) | instskip(NEXT) | instid1(SALU_CYCLE_1)
	s_and_b32 s10, s10, s11
	s_and_b32 s10, s10, s7
	s_delay_alu instid0(SALU_CYCLE_1) | instskip(NEXT) | instid1(SALU_CYCLE_1)
	s_and_b32 s12, s10, s4
	s_and_saveexec_b32 s10, s12
	s_cbranch_execz .LBB3_15
; %bb.14:                               ;   in Loop: Header=BB3_3 Depth=1
	global_load_b32 v20, v[3:4], off offset:20
	global_load_b32 v21, v[5:6], off offset:8
	s_waitcnt vmcnt(0)
	v_fmac_f32_e32 v17, v20, v21
.LBB3_15:                               ;   in Loop: Header=BB3_3 Depth=1
	s_or_b32 exec_lo, exec_lo, s10
	v_cmp_lt_i32_e64 s10, -3, v19
	v_add_nc_u32_e32 v19, 2, v19
	s_delay_alu instid0(VALU_DEP_2) | instskip(NEXT) | instid1(VALU_DEP_1)
	s_and_b32 s13, s8, s10
	v_cmp_gt_i32_e64 s8, s18, v19
	s_and_b32 s12, s13, s0
	s_delay_alu instid0(SALU_CYCLE_1) | instskip(SKIP_1) | instid1(VALU_DEP_1)
	s_and_b32 s68, s12, s11
	v_add_co_u32 v5, s12, v5, s50
	v_add_co_ci_u32_e64 v6, s12, s51, v6, s12
	s_and_b32 s12, s68, s8
	s_delay_alu instid0(SALU_CYCLE_1) | instskip(NEXT) | instid1(SALU_CYCLE_1)
	s_and_b32 s68, s12, vcc_lo
	s_and_saveexec_b32 s12, s68
	s_cbranch_execz .LBB3_17
; %bb.16:                               ;   in Loop: Header=BB3_3 Depth=1
	global_load_b32 v19, v[3:4], off offset:24
	global_load_b32 v20, v[5:6], off
	s_waitcnt vmcnt(0)
	v_fmac_f32_e32 v17, v19, v20
.LBB3_17:                               ;   in Loop: Header=BB3_3 Depth=1
	s_or_b32 exec_lo, exec_lo, s12
	s_and_b32 s12, s13, s1
	s_delay_alu instid0(SALU_CYCLE_1) | instskip(NEXT) | instid1(SALU_CYCLE_1)
	s_and_b32 s12, s12, s11
	s_and_b32 s12, s12, s8
	s_delay_alu instid0(SALU_CYCLE_1) | instskip(NEXT) | instid1(SALU_CYCLE_1)
	s_and_b32 s68, s12, s2
	s_and_saveexec_b32 s12, s68
	s_cbranch_execz .LBB3_19
; %bb.18:                               ;   in Loop: Header=BB3_3 Depth=1
	global_load_b32 v19, v[3:4], off offset:28
	global_load_b32 v20, v[5:6], off offset:4
	s_waitcnt vmcnt(0)
	v_fmac_f32_e32 v17, v19, v20
.LBB3_19:                               ;   in Loop: Header=BB3_3 Depth=1
	s_or_b32 exec_lo, exec_lo, s12
	s_and_b32 s12, s13, s3
	s_delay_alu instid0(SALU_CYCLE_1) | instskip(NEXT) | instid1(SALU_CYCLE_1)
	s_and_b32 s11, s12, s11
	s_and_b32 s11, s11, s8
	s_delay_alu instid0(SALU_CYCLE_1) | instskip(NEXT) | instid1(SALU_CYCLE_1)
	s_and_b32 s12, s11, s4
	s_and_saveexec_b32 s11, s12
	s_cbranch_execz .LBB3_21
; %bb.20:                               ;   in Loop: Header=BB3_3 Depth=1
	global_load_b32 v19, v[3:4], off offset:32
	global_load_b32 v20, v[5:6], off offset:8
	s_waitcnt vmcnt(0)
	v_fmac_f32_e32 v17, v19, v20
.LBB3_21:                               ;   in Loop: Header=BB3_3 Depth=1
	s_or_b32 exec_lo, exec_lo, s11
	v_add_nc_u32_e32 v19, 1, v18
	v_cmp_lt_i32_e64 s12, -2, v18
	s_add_u32 s13, s52, s50
	s_addc_u32 s69, s53, s51
	v_add_co_u32 v5, s13, s13, v5
	v_cmp_gt_i32_e64 s11, s17, v19
	s_and_b32 s68, s12, s6
	v_add_co_ci_u32_e64 v6, s13, s69, v6, s13
	s_and_b32 s70, s68, s0
	s_delay_alu instid0(VALU_DEP_2) | instid1(SALU_CYCLE_1)
	s_and_b32 s70, s70, s11
	s_delay_alu instid0(SALU_CYCLE_1) | instskip(NEXT) | instid1(SALU_CYCLE_1)
	s_and_b32 s13, s70, s5
	s_and_b32 s69, s13, vcc_lo
	s_delay_alu instid0(SALU_CYCLE_1)
	s_and_saveexec_b32 s13, s69
	s_cbranch_execz .LBB3_23
; %bb.22:                               ;   in Loop: Header=BB3_3 Depth=1
	global_load_b32 v19, v[3:4], off offset:36
	global_load_b32 v20, v[5:6], off
	s_waitcnt vmcnt(0)
	v_fmac_f32_e32 v17, v19, v20
.LBB3_23:                               ;   in Loop: Header=BB3_3 Depth=1
	s_or_b32 exec_lo, exec_lo, s13
	s_and_b32 s13, s68, s1
	s_delay_alu instid0(SALU_CYCLE_1) | instskip(NEXT) | instid1(SALU_CYCLE_1)
	s_and_b32 s13, s13, s11
	s_and_b32 s13, s13, s5
	s_delay_alu instid0(SALU_CYCLE_1) | instskip(NEXT) | instid1(SALU_CYCLE_1)
	s_and_b32 s69, s13, s2
	s_and_saveexec_b32 s13, s69
	s_cbranch_execz .LBB3_25
; %bb.24:                               ;   in Loop: Header=BB3_3 Depth=1
	global_load_b32 v19, v[3:4], off offset:40
	global_load_b32 v20, v[5:6], off offset:4
	s_waitcnt vmcnt(0)
	v_fmac_f32_e32 v17, v19, v20
.LBB3_25:                               ;   in Loop: Header=BB3_3 Depth=1
	s_or_b32 exec_lo, exec_lo, s13
	s_and_b32 s13, s68, s3
	s_delay_alu instid0(SALU_CYCLE_1) | instskip(NEXT) | instid1(SALU_CYCLE_1)
	s_and_b32 s13, s13, s11
	s_and_b32 s13, s13, s5
	s_delay_alu instid0(SALU_CYCLE_1) | instskip(NEXT) | instid1(SALU_CYCLE_1)
	s_and_b32 s68, s13, s4
	s_and_saveexec_b32 s13, s68
	s_cbranch_execz .LBB3_27
; %bb.26:                               ;   in Loop: Header=BB3_3 Depth=1
	global_load_b32 v19, v[3:4], off offset:44
	global_load_b32 v20, v[5:6], off offset:8
	s_waitcnt vmcnt(0)
	v_fmac_f32_e32 v17, v19, v20
.LBB3_27:                               ;   in Loop: Header=BB3_3 Depth=1
	s_or_b32 exec_lo, exec_lo, s13
	s_and_b32 s68, s12, s9
	s_delay_alu instid0(SALU_CYCLE_1) | instskip(NEXT) | instid1(SALU_CYCLE_1)
	s_and_b32 s13, s68, s0
	s_and_b32 s69, s13, s11
	v_add_co_u32 v5, s13, v5, s50
	s_delay_alu instid0(VALU_DEP_1) | instskip(SKIP_1) | instid1(SALU_CYCLE_1)
	v_add_co_ci_u32_e64 v6, s13, s51, v6, s13
	s_and_b32 s13, s69, s7
	s_and_b32 s69, s13, vcc_lo
	s_delay_alu instid0(SALU_CYCLE_1)
	s_and_saveexec_b32 s13, s69
	s_cbranch_execz .LBB3_29
; %bb.28:                               ;   in Loop: Header=BB3_3 Depth=1
	global_load_b32 v19, v[3:4], off offset:48
	global_load_b32 v20, v[5:6], off
	s_waitcnt vmcnt(0)
	v_fmac_f32_e32 v17, v19, v20
.LBB3_29:                               ;   in Loop: Header=BB3_3 Depth=1
	s_or_b32 exec_lo, exec_lo, s13
	s_and_b32 s13, s68, s1
	s_delay_alu instid0(SALU_CYCLE_1) | instskip(NEXT) | instid1(SALU_CYCLE_1)
	s_and_b32 s13, s13, s11
	s_and_b32 s13, s13, s7
	s_delay_alu instid0(SALU_CYCLE_1) | instskip(NEXT) | instid1(SALU_CYCLE_1)
	s_and_b32 s69, s13, s2
	s_and_saveexec_b32 s13, s69
	s_cbranch_execz .LBB3_31
; %bb.30:                               ;   in Loop: Header=BB3_3 Depth=1
	global_load_b32 v19, v[3:4], off offset:52
	global_load_b32 v20, v[5:6], off offset:4
	s_waitcnt vmcnt(0)
	v_fmac_f32_e32 v17, v19, v20
.LBB3_31:                               ;   in Loop: Header=BB3_3 Depth=1
	s_or_b32 exec_lo, exec_lo, s13
	s_and_b32 s13, s68, s3
	s_delay_alu instid0(SALU_CYCLE_1) | instskip(NEXT) | instid1(SALU_CYCLE_1)
	s_and_b32 s13, s13, s11
	s_and_b32 s13, s13, s7
	s_delay_alu instid0(SALU_CYCLE_1) | instskip(NEXT) | instid1(SALU_CYCLE_1)
	s_and_b32 s68, s13, s4
	s_and_saveexec_b32 s13, s68
	s_cbranch_execz .LBB3_33
; %bb.32:                               ;   in Loop: Header=BB3_3 Depth=1
	global_load_b32 v19, v[3:4], off offset:56
	global_load_b32 v20, v[5:6], off offset:8
	s_waitcnt vmcnt(0)
	v_fmac_f32_e32 v17, v19, v20
.LBB3_33:                               ;   in Loop: Header=BB3_3 Depth=1
	s_or_b32 exec_lo, exec_lo, s13
	s_and_b32 s13, s12, s10
	s_delay_alu instid0(SALU_CYCLE_1) | instskip(NEXT) | instid1(SALU_CYCLE_1)
	s_and_b32 s12, s13, s0
	s_and_b32 s68, s12, s11
	v_add_co_u32 v5, s12, v5, s50
	s_delay_alu instid0(VALU_DEP_1) | instskip(SKIP_1) | instid1(SALU_CYCLE_1)
	v_add_co_ci_u32_e64 v6, s12, s51, v6, s12
	s_and_b32 s12, s68, s8
	s_and_b32 s68, s12, vcc_lo
	s_delay_alu instid0(SALU_CYCLE_1)
	s_and_saveexec_b32 s12, s68
	s_cbranch_execz .LBB3_35
; %bb.34:                               ;   in Loop: Header=BB3_3 Depth=1
	global_load_b32 v19, v[3:4], off offset:60
	global_load_b32 v20, v[5:6], off
	s_waitcnt vmcnt(0)
	v_fmac_f32_e32 v17, v19, v20
.LBB3_35:                               ;   in Loop: Header=BB3_3 Depth=1
	s_or_b32 exec_lo, exec_lo, s12
	s_and_b32 s12, s13, s1
	s_delay_alu instid0(SALU_CYCLE_1) | instskip(NEXT) | instid1(SALU_CYCLE_1)
	s_and_b32 s12, s12, s11
	s_and_b32 s12, s12, s8
	s_delay_alu instid0(SALU_CYCLE_1) | instskip(NEXT) | instid1(SALU_CYCLE_1)
	s_and_b32 s68, s12, s2
	s_and_saveexec_b32 s12, s68
	s_cbranch_execz .LBB3_37
; %bb.36:                               ;   in Loop: Header=BB3_3 Depth=1
	global_load_b32 v19, v[3:4], off offset:64
	global_load_b32 v20, v[5:6], off offset:4
	s_waitcnt vmcnt(0)
	v_fmac_f32_e32 v17, v19, v20
.LBB3_37:                               ;   in Loop: Header=BB3_3 Depth=1
	s_or_b32 exec_lo, exec_lo, s12
	s_and_b32 s12, s13, s3
	s_delay_alu instid0(SALU_CYCLE_1) | instskip(NEXT) | instid1(SALU_CYCLE_1)
	s_and_b32 s11, s12, s11
	s_and_b32 s11, s11, s8
	s_delay_alu instid0(SALU_CYCLE_1) | instskip(NEXT) | instid1(SALU_CYCLE_1)
	s_and_b32 s12, s11, s4
	s_and_saveexec_b32 s11, s12
	s_cbranch_execz .LBB3_39
; %bb.38:                               ;   in Loop: Header=BB3_3 Depth=1
	global_load_b32 v19, v[3:4], off offset:68
	global_load_b32 v20, v[5:6], off offset:8
	s_waitcnt vmcnt(0)
	v_fmac_f32_e32 v17, v19, v20
.LBB3_39:                               ;   in Loop: Header=BB3_3 Depth=1
	s_or_b32 exec_lo, exec_lo, s11
	v_add_nc_u32_e32 v19, 2, v18
	v_cmp_lt_i32_e64 s12, -3, v18
	s_add_u32 s68, s52, s50
	s_addc_u32 s69, s53, s51
	s_delay_alu instid0(VALU_DEP_2) | instskip(NEXT) | instid1(VALU_DEP_2)
	v_cmp_gt_i32_e64 s11, s17, v19
	s_and_b32 s13, s12, s6
	s_delay_alu instid0(SALU_CYCLE_1)
	s_and_b32 s6, s13, s0
	s_delay_alu instid0(VALU_DEP_1) | instid1(SALU_CYCLE_1)
	s_and_b32 s70, s6, s11
	v_add_co_u32 v5, s6, s68, v5
	s_delay_alu instid0(VALU_DEP_1) | instskip(SKIP_1) | instid1(SALU_CYCLE_1)
	v_add_co_ci_u32_e64 v6, s6, s69, v6, s6
	s_and_b32 s6, s70, s5
	s_and_b32 s68, s6, vcc_lo
	s_delay_alu instid0(SALU_CYCLE_1)
	s_and_saveexec_b32 s6, s68
	s_cbranch_execz .LBB3_41
; %bb.40:                               ;   in Loop: Header=BB3_3 Depth=1
	global_load_b32 v18, v[3:4], off offset:72
	global_load_b32 v19, v[5:6], off
	s_waitcnt vmcnt(0)
	v_fmac_f32_e32 v17, v18, v19
.LBB3_41:                               ;   in Loop: Header=BB3_3 Depth=1
	s_or_b32 exec_lo, exec_lo, s6
	s_and_b32 s6, s13, s1
	s_delay_alu instid0(SALU_CYCLE_1) | instskip(NEXT) | instid1(SALU_CYCLE_1)
	s_and_b32 s6, s6, s11
	s_and_b32 s6, s6, s5
	s_delay_alu instid0(SALU_CYCLE_1) | instskip(NEXT) | instid1(SALU_CYCLE_1)
	s_and_b32 s68, s6, s2
	s_and_saveexec_b32 s6, s68
	s_cbranch_execz .LBB3_43
; %bb.42:                               ;   in Loop: Header=BB3_3 Depth=1
	global_load_b32 v18, v[3:4], off offset:76
	global_load_b32 v19, v[5:6], off offset:4
	s_waitcnt vmcnt(0)
	v_fmac_f32_e32 v17, v18, v19
.LBB3_43:                               ;   in Loop: Header=BB3_3 Depth=1
	s_or_b32 exec_lo, exec_lo, s6
	s_and_b32 s6, s13, s3
	s_delay_alu instid0(SALU_CYCLE_1) | instskip(NEXT) | instid1(SALU_CYCLE_1)
	s_and_b32 s6, s6, s11
	s_and_b32 s5, s6, s5
	s_delay_alu instid0(SALU_CYCLE_1) | instskip(NEXT) | instid1(SALU_CYCLE_1)
	s_and_b32 s6, s5, s4
	s_and_saveexec_b32 s5, s6
	s_cbranch_execz .LBB3_45
; %bb.44:                               ;   in Loop: Header=BB3_3 Depth=1
	global_load_b32 v18, v[3:4], off offset:80
	global_load_b32 v19, v[5:6], off offset:8
	s_waitcnt vmcnt(0)
	v_fmac_f32_e32 v17, v18, v19
.LBB3_45:                               ;   in Loop: Header=BB3_3 Depth=1
	s_or_b32 exec_lo, exec_lo, s5
	s_and_b32 s6, s12, s9
	s_delay_alu instid0(SALU_CYCLE_1) | instskip(NEXT) | instid1(SALU_CYCLE_1)
	s_and_b32 s5, s6, s0
	s_and_b32 s9, s5, s11
	v_add_co_u32 v5, s5, v5, s50
	s_delay_alu instid0(VALU_DEP_1) | instskip(SKIP_1) | instid1(SALU_CYCLE_1)
	v_add_co_ci_u32_e64 v6, s5, s51, v6, s5
	s_and_b32 s5, s9, s7
	s_and_b32 s9, s5, vcc_lo
	s_delay_alu instid0(SALU_CYCLE_1)
	s_and_saveexec_b32 s5, s9
	s_cbranch_execz .LBB3_47
; %bb.46:                               ;   in Loop: Header=BB3_3 Depth=1
	global_load_b32 v18, v[3:4], off offset:84
	global_load_b32 v19, v[5:6], off
	s_waitcnt vmcnt(0)
	v_fmac_f32_e32 v17, v18, v19
.LBB3_47:                               ;   in Loop: Header=BB3_3 Depth=1
	s_or_b32 exec_lo, exec_lo, s5
	s_and_b32 s5, s6, s1
	s_delay_alu instid0(SALU_CYCLE_1) | instskip(NEXT) | instid1(SALU_CYCLE_1)
	s_and_b32 s5, s5, s11
	s_and_b32 s5, s5, s7
	s_delay_alu instid0(SALU_CYCLE_1) | instskip(NEXT) | instid1(SALU_CYCLE_1)
	s_and_b32 s9, s5, s2
	s_and_saveexec_b32 s5, s9
	s_cbranch_execz .LBB3_49
; %bb.48:                               ;   in Loop: Header=BB3_3 Depth=1
	global_load_b32 v18, v[3:4], off offset:88
	global_load_b32 v19, v[5:6], off offset:4
	s_waitcnt vmcnt(0)
	v_fmac_f32_e32 v17, v18, v19
.LBB3_49:                               ;   in Loop: Header=BB3_3 Depth=1
	s_or_b32 exec_lo, exec_lo, s5
	s_and_b32 s5, s6, s3
	s_delay_alu instid0(SALU_CYCLE_1) | instskip(NEXT) | instid1(SALU_CYCLE_1)
	s_and_b32 s5, s5, s11
	s_and_b32 s5, s5, s7
	s_delay_alu instid0(SALU_CYCLE_1) | instskip(NEXT) | instid1(SALU_CYCLE_1)
	s_and_b32 s6, s5, s4
	s_and_saveexec_b32 s5, s6
	s_cbranch_execz .LBB3_51
; %bb.50:                               ;   in Loop: Header=BB3_3 Depth=1
	global_load_b32 v18, v[3:4], off offset:92
	global_load_b32 v19, v[5:6], off offset:8
	s_waitcnt vmcnt(0)
	v_fmac_f32_e32 v17, v18, v19
.LBB3_51:                               ;   in Loop: Header=BB3_3 Depth=1
	s_or_b32 exec_lo, exec_lo, s5
	s_and_b32 s5, s12, s10
	s_delay_alu instid0(SALU_CYCLE_1) | instskip(NEXT) | instid1(SALU_CYCLE_1)
	s_and_b32 s0, s5, s0
	s_and_b32 s6, s0, s11
	v_add_co_u32 v5, s0, v5, s50
	s_delay_alu instid0(VALU_DEP_1) | instskip(SKIP_1) | instid1(SALU_CYCLE_1)
	v_add_co_ci_u32_e64 v6, s0, s51, v6, s0
	s_and_b32 s0, s6, s8
	s_and_b32 s6, s0, vcc_lo
	s_delay_alu instid0(SALU_CYCLE_1)
	s_and_saveexec_b32 s0, s6
	s_cbranch_execz .LBB3_53
; %bb.52:                               ;   in Loop: Header=BB3_3 Depth=1
	global_load_b32 v18, v[3:4], off offset:96
	global_load_b32 v19, v[5:6], off
	s_waitcnt vmcnt(0)
	v_fmac_f32_e32 v17, v18, v19
.LBB3_53:                               ;   in Loop: Header=BB3_3 Depth=1
	s_or_b32 exec_lo, exec_lo, s0
	s_and_b32 s0, s5, s1
	s_delay_alu instid0(SALU_CYCLE_1) | instskip(NEXT) | instid1(SALU_CYCLE_1)
	s_and_b32 s0, s0, s11
	s_and_b32 s0, s0, s8
	s_delay_alu instid0(SALU_CYCLE_1) | instskip(NEXT) | instid1(SALU_CYCLE_1)
	s_and_b32 s1, s0, s2
	s_and_saveexec_b32 s0, s1
	s_cbranch_execz .LBB3_55
; %bb.54:                               ;   in Loop: Header=BB3_3 Depth=1
	global_load_b32 v18, v[3:4], off offset:100
	global_load_b32 v19, v[5:6], off offset:4
	s_waitcnt vmcnt(0)
	v_fmac_f32_e32 v17, v18, v19
.LBB3_55:                               ;   in Loop: Header=BB3_3 Depth=1
	s_or_b32 exec_lo, exec_lo, s0
	s_and_b32 s0, s5, s3
	s_delay_alu instid0(SALU_CYCLE_1) | instskip(NEXT) | instid1(SALU_CYCLE_1)
	s_and_b32 s0, s0, s11
	s_and_b32 s0, s0, s8
	s_delay_alu instid0(SALU_CYCLE_1) | instskip(NEXT) | instid1(SALU_CYCLE_1)
	s_and_b32 s1, s0, s4
	s_and_saveexec_b32 s0, s1
	s_cbranch_execz .LBB3_57
; %bb.56:                               ;   in Loop: Header=BB3_3 Depth=1
	global_load_b32 v3, v[3:4], off offset:104
	global_load_b32 v4, v[5:6], off offset:8
	s_waitcnt vmcnt(0)
	v_fmac_f32_e32 v17, v3, v4
.LBB3_57:                               ;   in Loop: Header=BB3_3 Depth=1
	s_or_b32 exec_lo, exec_lo, s0
	s_delay_alu instid0(SALU_CYCLE_1)
	s_and_not1_b32 vcc_lo, exec_lo, s56
	s_cbranch_vccnz .LBB3_2
; %bb.58:                               ;   in Loop: Header=BB3_3 Depth=1
	v_lshlrev_b64 v[2:3], 2, v[1:2]
	s_delay_alu instid0(VALU_DEP_1) | instskip(NEXT) | instid1(VALU_DEP_2)
	v_add_co_u32 v2, vcc_lo, s40, v2
	v_add_co_ci_u32_e32 v3, vcc_lo, s41, v3, vcc_lo
	global_load_b32 v2, v[2:3], off
	s_waitcnt vmcnt(0)
	v_add_f32_e32 v17, v17, v2
	s_branch .LBB3_2
.LBB3_59:
	s_nop 0
	s_sendmsg sendmsg(MSG_DEALLOC_VGPRS)
	s_endpgm
	.section	.rodata,"a",@progbits
	.p2align	6, 0x0
	.amdhsa_kernel _ZN2at6native12_GLOBAL__N_128conv_depthwise3d_cuda_kernelIffLi3ELi3ELi3ELi1ELi1ELi1EEEvN5torch10headeronly6detail27GenericPackedTensorAccessorINS5_14TensorAccessorIN3c108ArrayRefIlEEKT_Lm4ENS4_16DefaultPtrTraitsEiEENS_6detail16IndexBoundsCheckILm5EiEESC_Lm5ESD_iEENS6_INS7_ISA_SB_Lm4ESD_iEESH_SB_Lm5ESD_iEESI_PSC_iiiiiiiii
		.amdhsa_group_segment_fixed_size 0
		.amdhsa_private_segment_fixed_size 0
		.amdhsa_kernarg_size 448
		.amdhsa_user_sgpr_count 15
		.amdhsa_user_sgpr_dispatch_ptr 0
		.amdhsa_user_sgpr_queue_ptr 0
		.amdhsa_user_sgpr_kernarg_segment_ptr 1
		.amdhsa_user_sgpr_dispatch_id 0
		.amdhsa_user_sgpr_private_segment_size 0
		.amdhsa_wavefront_size32 1
		.amdhsa_uses_dynamic_stack 0
		.amdhsa_enable_private_segment 0
		.amdhsa_system_sgpr_workgroup_id_x 1
		.amdhsa_system_sgpr_workgroup_id_y 0
		.amdhsa_system_sgpr_workgroup_id_z 0
		.amdhsa_system_sgpr_workgroup_info 0
		.amdhsa_system_vgpr_workitem_id 0
		.amdhsa_next_free_vgpr 29
		.amdhsa_next_free_sgpr 71
		.amdhsa_reserve_vcc 1
		.amdhsa_float_round_mode_32 0
		.amdhsa_float_round_mode_16_64 0
		.amdhsa_float_denorm_mode_32 3
		.amdhsa_float_denorm_mode_16_64 3
		.amdhsa_dx10_clamp 1
		.amdhsa_ieee_mode 1
		.amdhsa_fp16_overflow 0
		.amdhsa_workgroup_processor_mode 1
		.amdhsa_memory_ordered 1
		.amdhsa_forward_progress 0
		.amdhsa_shared_vgpr_count 0
		.amdhsa_exception_fp_ieee_invalid_op 0
		.amdhsa_exception_fp_denorm_src 0
		.amdhsa_exception_fp_ieee_div_zero 0
		.amdhsa_exception_fp_ieee_overflow 0
		.amdhsa_exception_fp_ieee_underflow 0
		.amdhsa_exception_fp_ieee_inexact 0
		.amdhsa_exception_int_div_zero 0
	.end_amdhsa_kernel
	.section	.text._ZN2at6native12_GLOBAL__N_128conv_depthwise3d_cuda_kernelIffLi3ELi3ELi3ELi1ELi1ELi1EEEvN5torch10headeronly6detail27GenericPackedTensorAccessorINS5_14TensorAccessorIN3c108ArrayRefIlEEKT_Lm4ENS4_16DefaultPtrTraitsEiEENS_6detail16IndexBoundsCheckILm5EiEESC_Lm5ESD_iEENS6_INS7_ISA_SB_Lm4ESD_iEESH_SB_Lm5ESD_iEESI_PSC_iiiiiiiii,"axG",@progbits,_ZN2at6native12_GLOBAL__N_128conv_depthwise3d_cuda_kernelIffLi3ELi3ELi3ELi1ELi1ELi1EEEvN5torch10headeronly6detail27GenericPackedTensorAccessorINS5_14TensorAccessorIN3c108ArrayRefIlEEKT_Lm4ENS4_16DefaultPtrTraitsEiEENS_6detail16IndexBoundsCheckILm5EiEESC_Lm5ESD_iEENS6_INS7_ISA_SB_Lm4ESD_iEESH_SB_Lm5ESD_iEESI_PSC_iiiiiiiii,comdat
.Lfunc_end3:
	.size	_ZN2at6native12_GLOBAL__N_128conv_depthwise3d_cuda_kernelIffLi3ELi3ELi3ELi1ELi1ELi1EEEvN5torch10headeronly6detail27GenericPackedTensorAccessorINS5_14TensorAccessorIN3c108ArrayRefIlEEKT_Lm4ENS4_16DefaultPtrTraitsEiEENS_6detail16IndexBoundsCheckILm5EiEESC_Lm5ESD_iEENS6_INS7_ISA_SB_Lm4ESD_iEESH_SB_Lm5ESD_iEESI_PSC_iiiiiiiii, .Lfunc_end3-_ZN2at6native12_GLOBAL__N_128conv_depthwise3d_cuda_kernelIffLi3ELi3ELi3ELi1ELi1ELi1EEEvN5torch10headeronly6detail27GenericPackedTensorAccessorINS5_14TensorAccessorIN3c108ArrayRefIlEEKT_Lm4ENS4_16DefaultPtrTraitsEiEENS_6detail16IndexBoundsCheckILm5EiEESC_Lm5ESD_iEENS6_INS7_ISA_SB_Lm4ESD_iEESH_SB_Lm5ESD_iEESI_PSC_iiiiiiiii
                                        ; -- End function
	.section	.AMDGPU.csdata,"",@progbits
; Kernel info:
; codeLenInByte = 3832
; NumSgprs: 73
; NumVgprs: 29
; ScratchSize: 0
; MemoryBound: 0
; FloatMode: 240
; IeeeMode: 1
; LDSByteSize: 0 bytes/workgroup (compile time only)
; SGPRBlocks: 9
; VGPRBlocks: 3
; NumSGPRsForWavesPerEU: 73
; NumVGPRsForWavesPerEU: 29
; Occupancy: 16
; WaveLimiterHint : 0
; COMPUTE_PGM_RSRC2:SCRATCH_EN: 0
; COMPUTE_PGM_RSRC2:USER_SGPR: 15
; COMPUTE_PGM_RSRC2:TRAP_HANDLER: 0
; COMPUTE_PGM_RSRC2:TGID_X_EN: 1
; COMPUTE_PGM_RSRC2:TGID_Y_EN: 0
; COMPUTE_PGM_RSRC2:TGID_Z_EN: 0
; COMPUTE_PGM_RSRC2:TIDIG_COMP_CNT: 0
	.section	.text._ZN2at6native12_GLOBAL__N_128conv_depthwise3d_cuda_kernelIffLin1ELin1ELin1ELi1ELi1ELi1EEEvN5torch10headeronly6detail27GenericPackedTensorAccessorINS5_14TensorAccessorIN3c108ArrayRefIlEEKT_Lm4ENS4_16DefaultPtrTraitsEiEENS_6detail16IndexBoundsCheckILm5EiEESC_Lm5ESD_iEENS6_INS7_ISA_SB_Lm4ESD_iEESH_SB_Lm5ESD_iEESI_PSC_iiiiiiiii,"axG",@progbits,_ZN2at6native12_GLOBAL__N_128conv_depthwise3d_cuda_kernelIffLin1ELin1ELin1ELi1ELi1ELi1EEEvN5torch10headeronly6detail27GenericPackedTensorAccessorINS5_14TensorAccessorIN3c108ArrayRefIlEEKT_Lm4ENS4_16DefaultPtrTraitsEiEENS_6detail16IndexBoundsCheckILm5EiEESC_Lm5ESD_iEENS6_INS7_ISA_SB_Lm4ESD_iEESH_SB_Lm5ESD_iEESI_PSC_iiiiiiiii,comdat
	.globl	_ZN2at6native12_GLOBAL__N_128conv_depthwise3d_cuda_kernelIffLin1ELin1ELin1ELi1ELi1ELi1EEEvN5torch10headeronly6detail27GenericPackedTensorAccessorINS5_14TensorAccessorIN3c108ArrayRefIlEEKT_Lm4ENS4_16DefaultPtrTraitsEiEENS_6detail16IndexBoundsCheckILm5EiEESC_Lm5ESD_iEENS6_INS7_ISA_SB_Lm4ESD_iEESH_SB_Lm5ESD_iEESI_PSC_iiiiiiiii ; -- Begin function _ZN2at6native12_GLOBAL__N_128conv_depthwise3d_cuda_kernelIffLin1ELin1ELin1ELi1ELi1ELi1EEEvN5torch10headeronly6detail27GenericPackedTensorAccessorINS5_14TensorAccessorIN3c108ArrayRefIlEEKT_Lm4ENS4_16DefaultPtrTraitsEiEENS_6detail16IndexBoundsCheckILm5EiEESC_Lm5ESD_iEENS6_INS7_ISA_SB_Lm4ESD_iEESH_SB_Lm5ESD_iEESI_PSC_iiiiiiiii
	.p2align	8
	.type	_ZN2at6native12_GLOBAL__N_128conv_depthwise3d_cuda_kernelIffLin1ELin1ELin1ELi1ELi1ELi1EEEvN5torch10headeronly6detail27GenericPackedTensorAccessorINS5_14TensorAccessorIN3c108ArrayRefIlEEKT_Lm4ENS4_16DefaultPtrTraitsEiEENS_6detail16IndexBoundsCheckILm5EiEESC_Lm5ESD_iEENS6_INS7_ISA_SB_Lm4ESD_iEESH_SB_Lm5ESD_iEESI_PSC_iiiiiiiii,@function
_ZN2at6native12_GLOBAL__N_128conv_depthwise3d_cuda_kernelIffLin1ELin1ELin1ELi1ELi1ELi1EEEvN5torch10headeronly6detail27GenericPackedTensorAccessorINS5_14TensorAccessorIN3c108ArrayRefIlEEKT_Lm4ENS4_16DefaultPtrTraitsEiEENS_6detail16IndexBoundsCheckILm5EiEESC_Lm5ESD_iEENS6_INS7_ISA_SB_Lm4ESD_iEESH_SB_Lm5ESD_iEESI_PSC_iiiiiiiii: ; @_ZN2at6native12_GLOBAL__N_128conv_depthwise3d_cuda_kernelIffLin1ELin1ELin1ELi1ELi1ELi1EEEvN5torch10headeronly6detail27GenericPackedTensorAccessorINS5_14TensorAccessorIN3c108ArrayRefIlEEKT_Lm4ENS4_16DefaultPtrTraitsEiEENS_6detail16IndexBoundsCheckILm5EiEESC_Lm5ESD_iEENS6_INS7_ISA_SB_Lm4ESD_iEESH_SB_Lm5ESD_iEESI_PSC_iiiiiiiii
; %bb.0:
	s_clause 0x3
	s_load_b128 s[4:7], s[0:1], 0xc
	s_load_b32 s12, s[0:1], 0xcc
	s_load_b128 s[8:11], s[0:1], 0x38
	s_load_b64 s[28:29], s[0:1], 0x48
	s_waitcnt lgkmcnt(0)
	s_abs_i32 s16, s4
	s_add_u32 s2, s0, 0xc0
	v_cvt_f32_u32_e32 v1, s16
	s_addc_u32 s3, s1, 0
	s_and_b32 s56, s12, 0xffff
	s_mul_i32 s30, s29, s8
	s_mov_b32 s8, exec_lo
	v_rcp_iflag_f32_e32 v2, v1
	v_mov_b32_e32 v1, 0
	s_ashr_i32 s31, s30, 31
	s_waitcnt_depctr 0xfff
	v_mul_f32_e32 v4, 0x4f7ffffe, v2
	v_mad_u64_u32 v[2:3], null, s56, s15, v[0:1]
	s_delay_alu instid0(VALU_DEP_2) | instskip(NEXT) | instid1(VALU_DEP_1)
	v_cvt_u32_f32_e32 v0, v4
	v_readfirstlane_b32 s12, v0
	s_delay_alu instid0(VALU_DEP_3)
	v_cmpx_gt_i64_e64 s[30:31], v[2:3]
	s_cbranch_execz .LBB4_17
; %bb.1:
	s_sub_i32 s8, 0, s16
	s_abs_i32 s33, s9
	s_mul_i32 s13, s8, s12
	s_ashr_i32 s8, s9, 31
	s_mul_hi_u32 s13, s12, s13
	s_ashr_i32 s4, s4, 31
	s_add_i32 s17, s12, s13
	s_clause 0x1
	s_load_b128 s[12:15], s[0:1], 0x70
	s_load_b64 s[34:35], s[0:1], 0x90
	s_waitcnt lgkmcnt(0)
	s_mul_hi_u32 s15, s33, s17
	s_xor_b32 s18, s8, s4
	s_mul_i32 s17, s15, s16
	v_cvt_f32_u32_e32 v0, s33
	s_sub_i32 s4, s33, s17
	s_add_i32 s17, s15, 1
	s_sub_i32 s19, s4, s16
	s_cmp_ge_u32 s4, s16
	v_rcp_iflag_f32_e32 v0, v0
	s_cselect_b32 s15, s17, s15
	s_cselect_b32 s4, s19, s4
	s_add_i32 s17, s15, 1
	s_cmp_ge_u32 s4, s16
	s_load_b32 s2, s[2:3], 0x0
	s_cselect_b32 s4, s17, s15
	s_load_b64 s[36:37], s[0:1], 0xa8
	s_xor_b32 s15, s4, s18
	s_load_b32 s4, s[0:1], 0x7c
	s_sub_i32 s60, s15, s18
	s_load_b128 s[16:19], s[0:1], 0x98
	s_cmp_gt_i32 s12, 0
	s_mov_b32 s48, 0
	s_cselect_b32 s15, -1, 0
	s_cmp_gt_i32 s13, 0
	s_cselect_b32 s49, -1, 0
	s_cmp_gt_i32 s14, 0
	s_cselect_b32 s50, -1, 0
	s_sub_i32 s20, s6, s13
	s_sub_i32 s44, s7, s14
	s_mul_i32 s46, s7, s20
	s_ashr_i32 s45, s44, 31
	s_ashr_i32 s47, s46, 31
	s_cmp_lg_u64 s[34:35], 0
	s_clause 0x1
	s_load_b64 s[38:39], s[0:1], 0x0
	s_load_b128 s[20:23], s[0:1], 0x1c
	s_cselect_b32 s51, -1, 0
	s_abs_i32 s52, s28
	s_abs_i32 s53, s11
	v_cvt_f32_u32_e32 v1, s52
	v_cvt_f32_u32_e32 v4, s53
	s_abs_i32 s54, s10
	s_abs_i32 s55, s60
	v_cvt_f32_u32_e32 v5, s54
	v_rcp_iflag_f32_e32 v1, v1
	v_rcp_iflag_f32_e32 v4, v4
	v_cvt_f32_u32_e32 v6, s55
	s_sub_i32 s25, 0, s53
	v_rcp_iflag_f32_e32 v5, v5
	v_mul_f32_e32 v0, 0x4f7ffffe, v0
	s_sub_i32 s24, 0, s52
	v_rcp_iflag_f32_e32 v6, v6
	s_clause 0x1
	s_load_b32 s3, s[0:1], 0x2c
	s_load_b64 s[40:41], s[0:1], 0x30
	s_waitcnt lgkmcnt(0)
	s_mul_i32 s56, s2, s56
	v_dual_mul_f32 v1, 0x4f7ffffe, v1 :: v_dual_mul_f32 v4, 0x4f7ffffe, v4
	s_ashr_i32 s57, s28, 31
	s_ashr_i32 s58, s11, 31
	s_waitcnt_depctr 0xfff
	v_mul_f32_e32 v5, 0x4f7ffffe, v5
	v_cvt_u32_f32_e32 v1, v1
	v_cvt_u32_f32_e32 v4, v4
	;; [unrolled: 1-line block ×3, first 2 shown]
	s_ashr_i32 s59, s10, 31
	v_cvt_u32_f32_e32 v5, v5
	v_mul_lo_u32 v7, s24, v1
	v_mul_lo_u32 v8, s25, v4
	s_sub_i32 s24, 0, s54
	s_sub_i32 s25, 0, s55
	v_mul_lo_u32 v9, s24, v5
	s_sub_i32 s24, 0, s33
	s_ashr_i32 s60, s60, 31
	v_mul_lo_u32 v10, s24, v0
	v_mul_hi_u32 v7, v1, v7
	v_mul_hi_u32 v12, v4, v8
	v_mul_f32_e32 v6, 0x4f7ffffe, v6
	s_lshl_b64 s[44:45], s[44:45], 2
	v_mul_hi_u32 v13, v5, v9
	s_lshl_b64 s[46:47], s[46:47], 2
	v_mul_hi_u32 v14, v0, v10
	v_add_nc_u32_e32 v8, v1, v7
	v_add_nc_u32_e32 v9, v4, v12
	v_cvt_u32_f32_e32 v6, v6
	v_add_nc_u32_e32 v10, v5, v13
	s_delay_alu instid0(VALU_DEP_2) | instskip(SKIP_3) | instid1(VALU_DEP_1)
	v_mul_lo_u32 v11, s25, v6
	s_clause 0x1
	s_load_b64 s[42:43], s[0:1], 0x60
	s_load_b128 s[24:27], s[0:1], 0x50
	v_mul_hi_u32 v15, v6, v11
	v_add_nc_u32_e32 v11, v0, v14
	s_delay_alu instid0(VALU_DEP_2)
	v_add_nc_u32_e32 v12, v6, v15
	s_branch .LBB4_3
.LBB4_2:                                ;   in Loop: Header=BB4_3 Depth=1
	v_mul_lo_u32 v4, v16, s29
	s_waitcnt lgkmcnt(0)
	v_mul_lo_u32 v0, s24, v0
	v_mul_lo_u32 v6, s25, v15
	;; [unrolled: 1-line block ×3, first 2 shown]
	v_add_co_u32 v2, vcc_lo, v2, s56
	v_add_co_ci_u32_e32 v3, vcc_lo, 0, v3, vcc_lo
	v_ashrrev_i32_e32 v5, 31, v4
	v_ashrrev_i32_e32 v1, 31, v0
	;; [unrolled: 1-line block ×3, first 2 shown]
	v_mul_lo_u32 v18, s27, v13
	v_ashrrev_i32_e32 v15, 31, v14
	v_lshlrev_b64 v[4:5], 2, v[4:5]
	v_lshlrev_b64 v[0:1], 2, v[0:1]
	s_delay_alu instid0(VALU_DEP_4) | instskip(NEXT) | instid1(VALU_DEP_3)
	v_ashrrev_i32_e32 v19, 31, v18
	v_add_co_u32 v13, vcc_lo, s40, v4
	s_delay_alu instid0(VALU_DEP_4) | instskip(SKIP_1) | instid1(VALU_DEP_3)
	v_add_co_ci_u32_e32 v16, vcc_lo, s41, v5, vcc_lo
	v_lshlrev_b64 v[4:5], 2, v[6:7]
	v_add_co_u32 v6, vcc_lo, v13, v0
	s_delay_alu instid0(VALU_DEP_3) | instskip(SKIP_1) | instid1(VALU_DEP_3)
	v_add_co_ci_u32_e32 v7, vcc_lo, v16, v1, vcc_lo
	v_lshlrev_b64 v[0:1], 2, v[14:15]
	v_add_co_u32 v6, vcc_lo, v6, v4
	s_delay_alu instid0(VALU_DEP_3) | instskip(SKIP_1) | instid1(VALU_DEP_3)
	;; [unrolled: 4-line block ×3, first 2 shown]
	v_add_co_ci_u32_e32 v1, vcc_lo, v7, v1, vcc_lo
	v_cmp_le_i64_e32 vcc_lo, s[30:31], v[2:3]
	v_add_co_u32 v0, s0, v0, v4
	s_delay_alu instid0(VALU_DEP_1)
	v_add_co_ci_u32_e64 v1, s0, v1, v5, s0
	s_or_b32 s48, vcc_lo, s48
	global_store_b32 v[0:1], v17, off
	s_and_not1_b32 exec_lo, exec_lo, s48
	s_cbranch_execz .LBB4_17
.LBB4_3:                                ; =>This Loop Header: Depth=1
                                        ;     Child Loop BB4_6 Depth 2
                                        ;       Child Loop BB4_9 Depth 3
                                        ;         Child Loop BB4_12 Depth 4
	v_sub_nc_u32_e32 v0, 0, v2
	s_delay_alu instid0(VALU_DEP_1) | instskip(NEXT) | instid1(VALU_DEP_1)
	v_max_i32_e32 v0, v2, v0
	v_mul_hi_u32 v1, v0, v8
	s_delay_alu instid0(VALU_DEP_1) | instskip(NEXT) | instid1(VALU_DEP_1)
	v_mul_lo_u32 v4, v1, s52
	v_sub_nc_u32_e32 v0, v0, v4
	v_add_nc_u32_e32 v4, 1, v1
	s_delay_alu instid0(VALU_DEP_2) | instskip(SKIP_1) | instid1(VALU_DEP_2)
	v_subrev_nc_u32_e32 v5, s52, v0
	v_cmp_le_u32_e32 vcc_lo, s52, v0
	v_dual_cndmask_b32 v1, v1, v4 :: v_dual_cndmask_b32 v0, v0, v5
	v_ashrrev_i32_e32 v4, 31, v2
	s_delay_alu instid0(VALU_DEP_2) | instskip(NEXT) | instid1(VALU_DEP_3)
	v_add_nc_u32_e32 v5, 1, v1
	v_cmp_le_u32_e32 vcc_lo, s52, v0
	s_delay_alu instid0(VALU_DEP_3) | instskip(NEXT) | instid1(VALU_DEP_3)
	v_xor_b32_e32 v4, s57, v4
	v_cndmask_b32_e32 v0, v1, v5, vcc_lo
	s_delay_alu instid0(VALU_DEP_1) | instskip(NEXT) | instid1(VALU_DEP_1)
	v_xor_b32_e32 v0, v0, v4
	v_sub_nc_u32_e32 v1, v0, v4
	s_delay_alu instid0(VALU_DEP_1) | instskip(NEXT) | instid1(VALU_DEP_1)
	v_sub_nc_u32_e32 v0, 0, v1
	v_max_i32_e32 v0, v1, v0
	s_delay_alu instid0(VALU_DEP_1) | instskip(NEXT) | instid1(VALU_DEP_1)
	v_mul_hi_u32 v4, v0, v9
	v_mul_lo_u32 v5, v4, s53
	s_delay_alu instid0(VALU_DEP_1) | instskip(SKIP_1) | instid1(VALU_DEP_2)
	v_sub_nc_u32_e32 v0, v0, v5
	v_add_nc_u32_e32 v5, 1, v4
	v_subrev_nc_u32_e32 v6, s53, v0
	v_cmp_le_u32_e32 vcc_lo, s53, v0
	s_delay_alu instid0(VALU_DEP_3) | instskip(NEXT) | instid1(VALU_DEP_3)
	v_cndmask_b32_e32 v4, v4, v5, vcc_lo
	v_cndmask_b32_e32 v0, v0, v6, vcc_lo
	v_ashrrev_i32_e32 v5, 31, v1
	s_delay_alu instid0(VALU_DEP_3) | instskip(NEXT) | instid1(VALU_DEP_3)
	v_add_nc_u32_e32 v6, 1, v4
	v_cmp_le_u32_e32 vcc_lo, s53, v0
	s_delay_alu instid0(VALU_DEP_3) | instskip(NEXT) | instid1(VALU_DEP_3)
	v_xor_b32_e32 v5, s58, v5
	v_cndmask_b32_e32 v0, v4, v6, vcc_lo
	s_delay_alu instid0(VALU_DEP_1) | instskip(NEXT) | instid1(VALU_DEP_1)
	v_xor_b32_e32 v0, v0, v5
	v_sub_nc_u32_e32 v4, v0, v5
	s_delay_alu instid0(VALU_DEP_1) | instskip(NEXT) | instid1(VALU_DEP_1)
	v_sub_nc_u32_e32 v0, 0, v4
	v_max_i32_e32 v0, v4, v0
	s_delay_alu instid0(VALU_DEP_1) | instskip(NEXT) | instid1(VALU_DEP_1)
	v_mul_hi_u32 v5, v0, v10
	v_mul_lo_u32 v6, v5, s54
	s_delay_alu instid0(VALU_DEP_1) | instskip(SKIP_1) | instid1(VALU_DEP_2)
	v_sub_nc_u32_e32 v0, v0, v6
	v_add_nc_u32_e32 v6, 1, v5
	v_subrev_nc_u32_e32 v7, s54, v0
	v_cmp_le_u32_e32 vcc_lo, s54, v0
	s_delay_alu instid0(VALU_DEP_2) | instskip(SKIP_1) | instid1(VALU_DEP_2)
	v_dual_cndmask_b32 v5, v5, v6 :: v_dual_cndmask_b32 v0, v0, v7
	v_ashrrev_i32_e32 v6, 31, v4
	v_add_nc_u32_e32 v7, 1, v5
	s_delay_alu instid0(VALU_DEP_3) | instskip(NEXT) | instid1(VALU_DEP_3)
	v_cmp_le_u32_e32 vcc_lo, s54, v0
	v_xor_b32_e32 v6, s59, v6
	s_delay_alu instid0(VALU_DEP_3) | instskip(NEXT) | instid1(VALU_DEP_1)
	v_cndmask_b32_e32 v0, v5, v7, vcc_lo
	v_xor_b32_e32 v0, v0, v6
	s_delay_alu instid0(VALU_DEP_1) | instskip(NEXT) | instid1(VALU_DEP_1)
	v_sub_nc_u32_e32 v0, v0, v6
	v_sub_nc_u32_e32 v5, 0, v0
	v_mul_lo_u32 v15, v0, s10
	s_delay_alu instid0(VALU_DEP_2) | instskip(NEXT) | instid1(VALU_DEP_2)
	v_max_i32_e32 v5, v0, v5
	v_sub_nc_u32_e32 v15, v4, v15
	s_delay_alu instid0(VALU_DEP_2) | instskip(NEXT) | instid1(VALU_DEP_1)
	v_mul_hi_u32 v6, v5, v11
	v_mul_lo_u32 v7, v6, s33
	s_delay_alu instid0(VALU_DEP_1) | instskip(SKIP_1) | instid1(VALU_DEP_2)
	v_sub_nc_u32_e32 v5, v5, v7
	v_add_nc_u32_e32 v7, 1, v6
	v_subrev_nc_u32_e32 v13, s33, v5
	v_cmp_le_u32_e32 vcc_lo, s33, v5
	s_delay_alu instid0(VALU_DEP_2) | instskip(SKIP_1) | instid1(VALU_DEP_2)
	v_dual_cndmask_b32 v6, v6, v7 :: v_dual_cndmask_b32 v5, v5, v13
	v_ashrrev_i32_e32 v7, 31, v0
	v_add_nc_u32_e32 v13, 1, v6
	s_delay_alu instid0(VALU_DEP_3) | instskip(NEXT) | instid1(VALU_DEP_3)
	v_cmp_le_u32_e32 vcc_lo, s33, v5
	v_xor_b32_e32 v7, s8, v7
	s_delay_alu instid0(VALU_DEP_3) | instskip(SKIP_2) | instid1(VALU_DEP_2)
	v_cndmask_b32_e32 v5, v6, v13, vcc_lo
	v_mul_lo_u32 v6, v1, s28
	s_and_not1_b32 vcc_lo, exec_lo, s15
	v_xor_b32_e32 v5, v5, v7
	s_delay_alu instid0(VALU_DEP_2) | instskip(NEXT) | instid1(VALU_DEP_2)
	v_sub_nc_u32_e32 v13, v2, v6
	v_sub_nc_u32_e32 v16, v5, v7
	v_mul_lo_u32 v7, v4, s11
	s_delay_alu instid0(VALU_DEP_2) | instskip(NEXT) | instid1(VALU_DEP_2)
	v_mul_lo_u32 v5, v16, s9
	v_sub_nc_u32_e32 v14, v1, v7
	s_delay_alu instid0(VALU_DEP_2) | instskip(NEXT) | instid1(VALU_DEP_1)
	v_sub_nc_u32_e32 v0, v0, v5
	v_ashrrev_i32_e32 v1, 31, v0
	s_cbranch_vccnz .LBB4_14
; %bb.4:                                ;   in Loop: Header=BB4_3 Depth=1
	v_sub_nc_u32_e32 v4, 0, v0
	v_mul_lo_u32 v17, v15, s16
	v_mul_lo_u32 v19, v14, s17
	s_mov_b32 s61, 0
	s_delay_alu instid0(VALU_DEP_3) | instskip(NEXT) | instid1(VALU_DEP_3)
	v_max_i32_e32 v4, v0, v4
	v_subrev_nc_u32_e32 v18, s19, v17
	s_delay_alu instid0(VALU_DEP_2) | instskip(NEXT) | instid1(VALU_DEP_4)
	v_mul_hi_u32 v5, v4, v12
	v_subrev_nc_u32_e32 v19, s36, v19
	s_delay_alu instid0(VALU_DEP_3) | instskip(NEXT) | instid1(VALU_DEP_2)
	v_mul_lo_u32 v23, s22, v18
	v_mul_lo_u32 v25, s23, v19
	s_delay_alu instid0(VALU_DEP_4) | instskip(NEXT) | instid1(VALU_DEP_3)
	v_mul_lo_u32 v6, v5, s55
	v_ashrrev_i32_e32 v24, 31, v23
	s_delay_alu instid0(VALU_DEP_3) | instskip(NEXT) | instid1(VALU_DEP_3)
	v_ashrrev_i32_e32 v26, 31, v25
	v_sub_nc_u32_e32 v4, v4, v6
	v_add_nc_u32_e32 v6, 1, v5
	s_delay_alu instid0(VALU_DEP_2) | instskip(SKIP_1) | instid1(VALU_DEP_2)
	v_subrev_nc_u32_e32 v7, s55, v4
	v_cmp_le_u32_e32 vcc_lo, s55, v4
	v_dual_cndmask_b32 v5, v5, v6 :: v_dual_cndmask_b32 v4, v4, v7
	v_xor_b32_e32 v7, s60, v1
	s_delay_alu instid0(VALU_DEP_2) | instskip(NEXT) | instid1(VALU_DEP_3)
	v_add_nc_u32_e32 v6, 1, v5
	v_cmp_le_u32_e32 vcc_lo, s55, v4
	s_delay_alu instid0(VALU_DEP_2) | instskip(SKIP_1) | instid1(VALU_DEP_2)
	v_cndmask_b32_e32 v4, v5, v6, vcc_lo
	v_mul_lo_u32 v6, s4, v0
	v_xor_b32_e32 v5, v4, v7
	v_mul_lo_u32 v4, s20, v16
	s_delay_alu instid0(VALU_DEP_2) | instskip(SKIP_1) | instid1(VALU_DEP_2)
	v_sub_nc_u32_e32 v5, v5, v7
	v_mul_lo_u32 v7, v13, s18
	v_mul_lo_u32 v21, s21, v5
	s_delay_alu instid0(VALU_DEP_4) | instskip(NEXT) | instid1(VALU_DEP_3)
	v_ashrrev_i32_e32 v5, 31, v4
	v_subrev_nc_u32_e32 v20, s37, v7
	v_ashrrev_i32_e32 v7, 31, v6
	s_delay_alu instid0(VALU_DEP_3) | instskip(SKIP_1) | instid1(VALU_DEP_4)
	v_lshlrev_b64 v[4:5], 2, v[4:5]
	v_ashrrev_i32_e32 v22, 31, v21
	v_mul_lo_u32 v27, s3, v20
	s_delay_alu instid0(VALU_DEP_4) | instskip(NEXT) | instid1(VALU_DEP_4)
	v_lshlrev_b64 v[6:7], 2, v[6:7]
	v_add_co_u32 v17, vcc_lo, s38, v4
	s_delay_alu instid0(VALU_DEP_4) | instskip(SKIP_3) | instid1(VALU_DEP_4)
	v_lshlrev_b64 v[21:22], 2, v[21:22]
	v_add_co_ci_u32_e32 v29, vcc_lo, s39, v5, vcc_lo
	v_lshlrev_b64 v[4:5], 2, v[23:24]
	v_ashrrev_i32_e32 v28, 31, v27
	v_add_co_u32 v17, vcc_lo, v17, v21
	s_delay_alu instid0(VALU_DEP_4) | instskip(SKIP_1) | instid1(VALU_DEP_3)
	v_add_co_ci_u32_e32 v23, vcc_lo, v29, v22, vcc_lo
	v_lshlrev_b64 v[21:22], 2, v[25:26]
	v_add_co_u32 v4, vcc_lo, v17, v4
	s_delay_alu instid0(VALU_DEP_3) | instskip(SKIP_1) | instid1(VALU_DEP_3)
	v_add_co_ci_u32_e32 v5, vcc_lo, v23, v5, vcc_lo
	v_lshlrev_b64 v[23:24], 2, v[27:28]
	v_add_co_u32 v17, vcc_lo, v4, v21
	s_delay_alu instid0(VALU_DEP_3)
	v_add_co_ci_u32_e32 v21, vcc_lo, v5, v22, vcc_lo
	s_waitcnt lgkmcnt(0)
	v_add_co_u32 v4, vcc_lo, s42, v6
	v_add_co_ci_u32_e32 v5, vcc_lo, s43, v7, vcc_lo
	v_add_co_u32 v6, vcc_lo, v17, v23
	v_add_co_ci_u32_e32 v7, vcc_lo, v21, v24, vcc_lo
	v_mov_b32_e32 v17, 0
	s_branch .LBB4_6
.LBB4_5:                                ;   in Loop: Header=BB4_6 Depth=2
	s_set_inst_prefetch_distance 0x2
	v_add_co_u32 v6, vcc_lo, v6, s46
	v_add_co_ci_u32_e32 v7, vcc_lo, s47, v7, vcc_lo
	s_add_i32 s61, s61, 1
	s_delay_alu instid0(SALU_CYCLE_1)
	s_cmp_eq_u32 s61, s12
	s_cbranch_scc1 .LBB4_15
.LBB4_6:                                ;   Parent Loop BB4_3 Depth=1
                                        ; =>  This Loop Header: Depth=2
                                        ;       Child Loop BB4_9 Depth 3
                                        ;         Child Loop BB4_12 Depth 4
	s_and_not1_b32 vcc_lo, exec_lo, s49
	s_cbranch_vccnz .LBB4_5
; %bb.7:                                ;   in Loop: Header=BB4_6 Depth=2
	v_add_nc_u32_e32 v21, s61, v18
	s_mov_b32 s62, 0
	s_delay_alu instid0(VALU_DEP_1)
	v_cmp_lt_i32_e64 s0, -1, v21
	v_cmp_gt_i32_e64 s1, s5, v21
	s_set_inst_prefetch_distance 0x1
	s_branch .LBB4_9
	.p2align	6
.LBB4_8:                                ;   in Loop: Header=BB4_9 Depth=3
	v_add_co_u32 v6, vcc_lo, v6, s44
	v_add_co_ci_u32_e32 v7, vcc_lo, s45, v7, vcc_lo
	s_add_i32 s62, s62, 1
	s_delay_alu instid0(SALU_CYCLE_1)
	s_cmp_eq_u32 s62, s13
	s_cbranch_scc1 .LBB4_5
.LBB4_9:                                ;   Parent Loop BB4_3 Depth=1
                                        ;     Parent Loop BB4_6 Depth=2
                                        ; =>    This Loop Header: Depth=3
                                        ;         Child Loop BB4_12 Depth 4
	s_and_not1_b32 vcc_lo, exec_lo, s50
	s_cbranch_vccnz .LBB4_8
; %bb.10:                               ;   in Loop: Header=BB4_9 Depth=3
	v_dual_mov_b32 v21, v20 :: v_dual_add_nc_u32 v22, s62, v19
	s_mov_b32 s64, s14
	s_delay_alu instid0(VALU_DEP_1) | instskip(SKIP_1) | instid1(VALU_DEP_2)
	v_cmp_lt_i32_e64 s2, -1, v22
	v_cmp_gt_i32_e32 vcc_lo, s6, v22
	s_and_b32 s63, s0, s2
	s_branch .LBB4_12
	.p2align	6
.LBB4_11:                               ;   in Loop: Header=BB4_12 Depth=4
	s_or_b32 exec_lo, exec_lo, s2
	v_add_co_u32 v4, s2, v4, 4
	s_delay_alu instid0(VALU_DEP_1) | instskip(SKIP_1) | instid1(VALU_DEP_1)
	v_add_co_ci_u32_e64 v5, s2, 0, v5, s2
	v_add_co_u32 v6, s2, v6, 4
	v_add_co_ci_u32_e64 v7, s2, 0, v7, s2
	v_add_nc_u32_e32 v21, 1, v21
	s_add_i32 s64, s64, -1
	s_delay_alu instid0(SALU_CYCLE_1)
	s_cmp_eq_u32 s64, 0
	s_cbranch_scc1 .LBB4_8
.LBB4_12:                               ;   Parent Loop BB4_3 Depth=1
                                        ;     Parent Loop BB4_6 Depth=2
                                        ;       Parent Loop BB4_9 Depth=3
                                        ; =>      This Inner Loop Header: Depth=4
	s_delay_alu instid0(VALU_DEP_1) | instskip(NEXT) | instid1(VALU_DEP_1)
	v_cmp_lt_i32_e64 s2, -1, v21
	s_and_b32 s65, s63, s2
	v_cmp_gt_i32_e64 s2, s7, v21
	s_and_b32 s65, s65, s1
	s_delay_alu instid0(SALU_CYCLE_1)
	s_and_b32 s65, s65, vcc_lo
	s_delay_alu instid0(VALU_DEP_1) | instid1(SALU_CYCLE_1)
	s_and_b32 s65, s65, s2
	s_delay_alu instid0(SALU_CYCLE_1)
	s_and_saveexec_b32 s2, s65
	s_cbranch_execz .LBB4_11
; %bb.13:                               ;   in Loop: Header=BB4_12 Depth=4
	global_load_b32 v22, v[4:5], off
	global_load_b32 v23, v[6:7], off
	s_waitcnt vmcnt(0)
	v_fmac_f32_e32 v17, v22, v23
	s_branch .LBB4_11
.LBB4_14:                               ;   in Loop: Header=BB4_3 Depth=1
	v_mov_b32_e32 v17, 0
.LBB4_15:                               ;   in Loop: Header=BB4_3 Depth=1
	s_and_b32 vcc_lo, exec_lo, s51
	s_cbranch_vccz .LBB4_2
; %bb.16:                               ;   in Loop: Header=BB4_3 Depth=1
	v_lshlrev_b64 v[4:5], 2, v[0:1]
	s_delay_alu instid0(VALU_DEP_1) | instskip(NEXT) | instid1(VALU_DEP_2)
	v_add_co_u32 v4, vcc_lo, s34, v4
	v_add_co_ci_u32_e32 v5, vcc_lo, s35, v5, vcc_lo
	global_load_b32 v1, v[4:5], off
	s_waitcnt vmcnt(0)
	v_add_f32_e32 v17, v17, v1
	s_branch .LBB4_2
.LBB4_17:
	s_nop 0
	s_sendmsg sendmsg(MSG_DEALLOC_VGPRS)
	s_endpgm
	.section	.rodata,"a",@progbits
	.p2align	6, 0x0
	.amdhsa_kernel _ZN2at6native12_GLOBAL__N_128conv_depthwise3d_cuda_kernelIffLin1ELin1ELin1ELi1ELi1ELi1EEEvN5torch10headeronly6detail27GenericPackedTensorAccessorINS5_14TensorAccessorIN3c108ArrayRefIlEEKT_Lm4ENS4_16DefaultPtrTraitsEiEENS_6detail16IndexBoundsCheckILm5EiEESC_Lm5ESD_iEENS6_INS7_ISA_SB_Lm4ESD_iEESH_SB_Lm5ESD_iEESI_PSC_iiiiiiiii
		.amdhsa_group_segment_fixed_size 0
		.amdhsa_private_segment_fixed_size 0
		.amdhsa_kernarg_size 448
		.amdhsa_user_sgpr_count 15
		.amdhsa_user_sgpr_dispatch_ptr 0
		.amdhsa_user_sgpr_queue_ptr 0
		.amdhsa_user_sgpr_kernarg_segment_ptr 1
		.amdhsa_user_sgpr_dispatch_id 0
		.amdhsa_user_sgpr_private_segment_size 0
		.amdhsa_wavefront_size32 1
		.amdhsa_uses_dynamic_stack 0
		.amdhsa_enable_private_segment 0
		.amdhsa_system_sgpr_workgroup_id_x 1
		.amdhsa_system_sgpr_workgroup_id_y 0
		.amdhsa_system_sgpr_workgroup_id_z 0
		.amdhsa_system_sgpr_workgroup_info 0
		.amdhsa_system_vgpr_workitem_id 0
		.amdhsa_next_free_vgpr 30
		.amdhsa_next_free_sgpr 66
		.amdhsa_reserve_vcc 1
		.amdhsa_float_round_mode_32 0
		.amdhsa_float_round_mode_16_64 0
		.amdhsa_float_denorm_mode_32 3
		.amdhsa_float_denorm_mode_16_64 3
		.amdhsa_dx10_clamp 1
		.amdhsa_ieee_mode 1
		.amdhsa_fp16_overflow 0
		.amdhsa_workgroup_processor_mode 1
		.amdhsa_memory_ordered 1
		.amdhsa_forward_progress 0
		.amdhsa_shared_vgpr_count 0
		.amdhsa_exception_fp_ieee_invalid_op 0
		.amdhsa_exception_fp_denorm_src 0
		.amdhsa_exception_fp_ieee_div_zero 0
		.amdhsa_exception_fp_ieee_overflow 0
		.amdhsa_exception_fp_ieee_underflow 0
		.amdhsa_exception_fp_ieee_inexact 0
		.amdhsa_exception_int_div_zero 0
	.end_amdhsa_kernel
	.section	.text._ZN2at6native12_GLOBAL__N_128conv_depthwise3d_cuda_kernelIffLin1ELin1ELin1ELi1ELi1ELi1EEEvN5torch10headeronly6detail27GenericPackedTensorAccessorINS5_14TensorAccessorIN3c108ArrayRefIlEEKT_Lm4ENS4_16DefaultPtrTraitsEiEENS_6detail16IndexBoundsCheckILm5EiEESC_Lm5ESD_iEENS6_INS7_ISA_SB_Lm4ESD_iEESH_SB_Lm5ESD_iEESI_PSC_iiiiiiiii,"axG",@progbits,_ZN2at6native12_GLOBAL__N_128conv_depthwise3d_cuda_kernelIffLin1ELin1ELin1ELi1ELi1ELi1EEEvN5torch10headeronly6detail27GenericPackedTensorAccessorINS5_14TensorAccessorIN3c108ArrayRefIlEEKT_Lm4ENS4_16DefaultPtrTraitsEiEENS_6detail16IndexBoundsCheckILm5EiEESC_Lm5ESD_iEENS6_INS7_ISA_SB_Lm4ESD_iEESH_SB_Lm5ESD_iEESI_PSC_iiiiiiiii,comdat
.Lfunc_end4:
	.size	_ZN2at6native12_GLOBAL__N_128conv_depthwise3d_cuda_kernelIffLin1ELin1ELin1ELi1ELi1ELi1EEEvN5torch10headeronly6detail27GenericPackedTensorAccessorINS5_14TensorAccessorIN3c108ArrayRefIlEEKT_Lm4ENS4_16DefaultPtrTraitsEiEENS_6detail16IndexBoundsCheckILm5EiEESC_Lm5ESD_iEENS6_INS7_ISA_SB_Lm4ESD_iEESH_SB_Lm5ESD_iEESI_PSC_iiiiiiiii, .Lfunc_end4-_ZN2at6native12_GLOBAL__N_128conv_depthwise3d_cuda_kernelIffLin1ELin1ELin1ELi1ELi1ELi1EEEvN5torch10headeronly6detail27GenericPackedTensorAccessorINS5_14TensorAccessorIN3c108ArrayRefIlEEKT_Lm4ENS4_16DefaultPtrTraitsEiEENS_6detail16IndexBoundsCheckILm5EiEESC_Lm5ESD_iEENS6_INS7_ISA_SB_Lm4ESD_iEESH_SB_Lm5ESD_iEESI_PSC_iiiiiiiii
                                        ; -- End function
	.section	.AMDGPU.csdata,"",@progbits
; Kernel info:
; codeLenInByte = 2120
; NumSgprs: 68
; NumVgprs: 30
; ScratchSize: 0
; MemoryBound: 0
; FloatMode: 240
; IeeeMode: 1
; LDSByteSize: 0 bytes/workgroup (compile time only)
; SGPRBlocks: 8
; VGPRBlocks: 3
; NumSGPRsForWavesPerEU: 68
; NumVGPRsForWavesPerEU: 30
; Occupancy: 16
; WaveLimiterHint : 0
; COMPUTE_PGM_RSRC2:SCRATCH_EN: 0
; COMPUTE_PGM_RSRC2:USER_SGPR: 15
; COMPUTE_PGM_RSRC2:TRAP_HANDLER: 0
; COMPUTE_PGM_RSRC2:TGID_X_EN: 1
; COMPUTE_PGM_RSRC2:TGID_Y_EN: 0
; COMPUTE_PGM_RSRC2:TGID_Z_EN: 0
; COMPUTE_PGM_RSRC2:TIDIG_COMP_CNT: 0
	.section	.text._ZN2at6native12_GLOBAL__N_128conv_depthwise3d_cuda_kernelIffLin1ELin1ELin1ELin1ELin1ELin1EEEvN5torch10headeronly6detail27GenericPackedTensorAccessorINS5_14TensorAccessorIN3c108ArrayRefIlEEKT_Lm4ENS4_16DefaultPtrTraitsEiEENS_6detail16IndexBoundsCheckILm5EiEESC_Lm5ESD_iEENS6_INS7_ISA_SB_Lm4ESD_iEESH_SB_Lm5ESD_iEESI_PSC_iiiiiiiii,"axG",@progbits,_ZN2at6native12_GLOBAL__N_128conv_depthwise3d_cuda_kernelIffLin1ELin1ELin1ELin1ELin1ELin1EEEvN5torch10headeronly6detail27GenericPackedTensorAccessorINS5_14TensorAccessorIN3c108ArrayRefIlEEKT_Lm4ENS4_16DefaultPtrTraitsEiEENS_6detail16IndexBoundsCheckILm5EiEESC_Lm5ESD_iEENS6_INS7_ISA_SB_Lm4ESD_iEESH_SB_Lm5ESD_iEESI_PSC_iiiiiiiii,comdat
	.globl	_ZN2at6native12_GLOBAL__N_128conv_depthwise3d_cuda_kernelIffLin1ELin1ELin1ELin1ELin1ELin1EEEvN5torch10headeronly6detail27GenericPackedTensorAccessorINS5_14TensorAccessorIN3c108ArrayRefIlEEKT_Lm4ENS4_16DefaultPtrTraitsEiEENS_6detail16IndexBoundsCheckILm5EiEESC_Lm5ESD_iEENS6_INS7_ISA_SB_Lm4ESD_iEESH_SB_Lm5ESD_iEESI_PSC_iiiiiiiii ; -- Begin function _ZN2at6native12_GLOBAL__N_128conv_depthwise3d_cuda_kernelIffLin1ELin1ELin1ELin1ELin1ELin1EEEvN5torch10headeronly6detail27GenericPackedTensorAccessorINS5_14TensorAccessorIN3c108ArrayRefIlEEKT_Lm4ENS4_16DefaultPtrTraitsEiEENS_6detail16IndexBoundsCheckILm5EiEESC_Lm5ESD_iEENS6_INS7_ISA_SB_Lm4ESD_iEESH_SB_Lm5ESD_iEESI_PSC_iiiiiiiii
	.p2align	8
	.type	_ZN2at6native12_GLOBAL__N_128conv_depthwise3d_cuda_kernelIffLin1ELin1ELin1ELin1ELin1ELin1EEEvN5torch10headeronly6detail27GenericPackedTensorAccessorINS5_14TensorAccessorIN3c108ArrayRefIlEEKT_Lm4ENS4_16DefaultPtrTraitsEiEENS_6detail16IndexBoundsCheckILm5EiEESC_Lm5ESD_iEENS6_INS7_ISA_SB_Lm4ESD_iEESH_SB_Lm5ESD_iEESI_PSC_iiiiiiiii,@function
_ZN2at6native12_GLOBAL__N_128conv_depthwise3d_cuda_kernelIffLin1ELin1ELin1ELin1ELin1ELin1EEEvN5torch10headeronly6detail27GenericPackedTensorAccessorINS5_14TensorAccessorIN3c108ArrayRefIlEEKT_Lm4ENS4_16DefaultPtrTraitsEiEENS_6detail16IndexBoundsCheckILm5EiEESC_Lm5ESD_iEENS6_INS7_ISA_SB_Lm4ESD_iEESH_SB_Lm5ESD_iEESI_PSC_iiiiiiiii: ; @_ZN2at6native12_GLOBAL__N_128conv_depthwise3d_cuda_kernelIffLin1ELin1ELin1ELin1ELin1ELin1EEEvN5torch10headeronly6detail27GenericPackedTensorAccessorINS5_14TensorAccessorIN3c108ArrayRefIlEEKT_Lm4ENS4_16DefaultPtrTraitsEiEENS_6detail16IndexBoundsCheckILm5EiEESC_Lm5ESD_iEENS6_INS7_ISA_SB_Lm4ESD_iEESH_SB_Lm5ESD_iEESI_PSC_iiiiiiiii
; %bb.0:
	s_clause 0x3
	s_load_b128 s[16:19], s[0:1], 0xc
	s_load_b32 s4, s[0:1], 0xcc
	s_load_b128 s[20:23], s[0:1], 0x38
	s_load_b64 s[34:35], s[0:1], 0x48
	s_mov_b32 s5, exec_lo
	s_waitcnt lgkmcnt(0)
	s_abs_i32 s24, s16
	s_add_u32 s2, s0, 0xc0
	v_cvt_f32_u32_e32 v1, s24
	s_addc_u32 s3, s1, 0
	s_and_b32 s48, s4, 0xffff
	s_mul_i32 s36, s35, s20
	s_delay_alu instid0(SALU_CYCLE_1) | instskip(SKIP_3) | instid1(VALU_DEP_1)
	s_ashr_i32 s37, s36, 31
	v_rcp_iflag_f32_e32 v2, v1
	s_waitcnt_depctr 0xfff
	v_dual_mov_b32 v1, 0 :: v_dual_mul_f32 v4, 0x4f7ffffe, v2
	v_mad_u64_u32 v[2:3], null, s48, s15, v[0:1]
	s_delay_alu instid0(VALU_DEP_2) | instskip(NEXT) | instid1(VALU_DEP_1)
	v_cvt_u32_f32_e32 v0, v4
	v_readfirstlane_b32 s4, v0
	s_delay_alu instid0(VALU_DEP_3)
	v_cmpx_gt_i64_e64 s[36:37], v[2:3]
	s_cbranch_execz .LBB5_17
; %bb.1:
	s_sub_i32 s5, 0, s24
	s_ashr_i32 s25, s16, 31
	s_mul_i32 s5, s5, s4
	s_abs_i32 s16, s21
	s_mul_hi_u32 s5, s4, s5
	s_clause 0x1
	s_load_b128 s[12:15], s[0:1], 0x70
	s_load_b64 s[40:41], s[0:1], 0x90
	s_add_i32 s4, s4, s5
	s_ashr_i32 s20, s21, 31
	s_waitcnt lgkmcnt(0)
	s_mul_hi_u32 s15, s16, s4
	s_load_b256 s[4:11], s[0:1], 0x98
	s_mul_i32 s26, s15, s24
	s_load_b32 s38, s[0:1], 0xb8
	s_sub_i32 s26, s16, s26
	s_xor_b32 s25, s20, s25
	s_add_i32 s27, s15, 1
	s_sub_i32 s28, s26, s24
	s_cmp_ge_u32 s26, s24
	s_load_b32 s2, s[2:3], 0x0
	s_cselect_b32 s15, s27, s15
	s_cselect_b32 s26, s28, s26
	s_add_i32 s27, s15, 1
	s_cmp_ge_u32 s26, s24
	v_cvt_f32_u32_e32 v5, s16
	s_cselect_b32 s15, s27, s15
	s_mov_b32 s59, 0
	s_xor_b32 s24, s15, s25
	s_load_b32 s15, s[0:1], 0x7c
	s_sub_i32 s49, s24, s25
	s_cmp_gt_i32 s12, 0
	s_waitcnt lgkmcnt(0)
	s_mul_i32 s25, s18, s10
	s_cselect_b32 s33, -1, 0
	s_cmp_gt_i32 s13, 0
	s_mul_i32 s26, s13, s11
	s_cselect_b32 s54, -1, 0
	s_cmp_gt_i32 s14, 0
	s_mul_i32 s24, s19, s11
	s_cselect_b32 s55, -1, 0
	s_mul_i32 s27, s14, s38
	s_sub_i32 s25, s25, s26
	s_sub_i32 s50, s24, s27
	s_mul_i32 s52, s25, s19
	s_ashr_i32 s39, s38, 31
	s_ashr_i32 s51, s50, 31
	;; [unrolled: 1-line block ×3, first 2 shown]
	s_cmp_lg_u64 s[40:41], 0
	v_rcp_iflag_f32_e32 v5, v5
	s_cselect_b32 s56, -1, 0
	s_abs_i32 s57, s34
	s_abs_i32 s58, s23
	v_cvt_f32_u32_e32 v0, s57
	v_cvt_f32_u32_e32 v1, s58
	s_abs_i32 s3, s22
	s_abs_i32 s60, s49
	v_cvt_f32_u32_e32 v4, s3
	v_rcp_iflag_f32_e32 v0, v0
	v_rcp_iflag_f32_e32 v1, v1
	v_cvt_f32_u32_e32 v6, s60
	s_sub_i32 s29, 0, s58
	v_rcp_iflag_f32_e32 v4, v4
	v_mul_f32_e32 v5, 0x4f7ffffe, v5
	s_sub_i32 s28, 0, s57
	v_rcp_iflag_f32_e32 v6, v6
	s_clause 0x3
	s_load_b64 s[42:43], s[0:1], 0x0
	s_load_b128 s[24:27], s[0:1], 0x1c
	s_load_b32 s61, s[0:1], 0x2c
	s_load_b64 s[44:45], s[0:1], 0x30
	v_dual_mul_f32 v0, 0x4f7ffffe, v0 :: v_dual_mul_f32 v1, 0x4f7ffffe, v1
	v_cvt_u32_f32_e32 v5, v5
	s_mul_i32 s62, s2, s48
	s_waitcnt_depctr 0xfff
	v_mul_f32_e32 v4, 0x4f7ffffe, v4
	v_cvt_u32_f32_e32 v0, v0
	v_cvt_u32_f32_e32 v1, v1
	s_ashr_i32 s63, s34, 31
	s_ashr_i32 s64, s23, 31
	v_cvt_u32_f32_e32 v4, v4
	v_mul_lo_u32 v7, s28, v0
	v_mul_lo_u32 v8, s29, v1
	s_sub_i32 s28, 0, s3
	s_sub_i32 s29, 0, s16
	v_mul_lo_u32 v9, s28, v4
	s_sub_i32 s28, 0, s60
	v_mul_lo_u32 v10, s29, v5
	s_ashr_i32 s65, s22, 31
	v_mul_hi_u32 v7, v0, v7
	v_mul_hi_u32 v8, v1, v8
	v_mul_f32_e32 v6, 0x4f7ffffe, v6
	s_ashr_i32 s66, s49, 31
	v_mul_hi_u32 v9, v4, v9
	s_lshl_b64 s[48:49], s[38:39], 2
	v_mul_hi_u32 v13, v5, v10
	v_cvt_u32_f32_e32 v6, v6
	v_add_nc_u32_e32 v10, v0, v7
	s_lshl_b64 s[50:51], s[50:51], 2
	s_lshl_b64 s[52:53], s[52:53], 2
	s_delay_alu instid0(VALU_DEP_2)
	v_mul_lo_u32 v11, s28, v6
	s_clause 0x1
	s_load_b64 s[46:47], s[0:1], 0x60
	s_load_b128 s[28:31], s[0:1], 0x50
	v_add_nc_u32_e32 v12, v4, v9
	v_add_nc_u32_e32 v13, v5, v13
	s_delay_alu instid0(VALU_DEP_3) | instskip(SKIP_1) | instid1(VALU_DEP_2)
	v_mul_hi_u32 v14, v6, v11
	v_add_nc_u32_e32 v11, v1, v8
	v_add_nc_u32_e32 v14, v6, v14
	s_branch .LBB5_3
.LBB5_2:                                ;   in Loop: Header=BB5_3 Depth=1
	v_mul_lo_u32 v4, v18, s35
	s_waitcnt lgkmcnt(0)
	v_mul_lo_u32 v0, s28, v0
	v_mul_lo_u32 v6, s29, v17
	;; [unrolled: 1-line block ×3, first 2 shown]
	v_add_co_u32 v2, vcc_lo, v2, s62
	v_add_co_ci_u32_e32 v3, vcc_lo, 0, v3, vcc_lo
	v_ashrrev_i32_e32 v5, 31, v4
	v_ashrrev_i32_e32 v1, 31, v0
	;; [unrolled: 1-line block ×3, first 2 shown]
	v_mul_lo_u32 v15, s31, v15
	v_ashrrev_i32_e32 v9, 31, v8
	v_lshlrev_b64 v[4:5], 2, v[4:5]
	v_lshlrev_b64 v[0:1], 2, v[0:1]
	s_delay_alu instid0(VALU_DEP_4) | instskip(NEXT) | instid1(VALU_DEP_3)
	v_ashrrev_i32_e32 v16, 31, v15
	v_add_co_u32 v17, vcc_lo, s44, v4
	s_delay_alu instid0(VALU_DEP_4) | instskip(SKIP_1) | instid1(VALU_DEP_3)
	v_add_co_ci_u32_e32 v18, vcc_lo, s45, v5, vcc_lo
	v_lshlrev_b64 v[4:5], 2, v[6:7]
	v_add_co_u32 v6, vcc_lo, v17, v0
	s_delay_alu instid0(VALU_DEP_3) | instskip(SKIP_1) | instid1(VALU_DEP_3)
	v_add_co_ci_u32_e32 v7, vcc_lo, v18, v1, vcc_lo
	v_lshlrev_b64 v[0:1], 2, v[8:9]
	v_add_co_u32 v6, vcc_lo, v6, v4
	s_delay_alu instid0(VALU_DEP_3) | instskip(SKIP_1) | instid1(VALU_DEP_3)
	v_add_co_ci_u32_e32 v7, vcc_lo, v7, v5, vcc_lo
	v_lshlrev_b64 v[4:5], 2, v[15:16]
	v_add_co_u32 v0, vcc_lo, v6, v0
	s_delay_alu instid0(VALU_DEP_3) | instskip(SKIP_1) | instid1(VALU_DEP_3)
	v_add_co_ci_u32_e32 v1, vcc_lo, v7, v1, vcc_lo
	v_cmp_le_i64_e32 vcc_lo, s[36:37], v[2:3]
	v_add_co_u32 v0, s0, v0, v4
	s_delay_alu instid0(VALU_DEP_1)
	v_add_co_ci_u32_e64 v1, s0, v1, v5, s0
	s_or_b32 s59, vcc_lo, s59
	global_store_b32 v[0:1], v19, off
	s_and_not1_b32 exec_lo, exec_lo, s59
	s_cbranch_execz .LBB5_17
.LBB5_3:                                ; =>This Loop Header: Depth=1
                                        ;     Child Loop BB5_6 Depth 2
                                        ;       Child Loop BB5_9 Depth 3
                                        ;         Child Loop BB5_12 Depth 4
	v_sub_nc_u32_e32 v0, 0, v2
	s_delay_alu instid0(VALU_DEP_1) | instskip(NEXT) | instid1(VALU_DEP_1)
	v_max_i32_e32 v0, v2, v0
	v_mul_hi_u32 v1, v0, v10
	s_delay_alu instid0(VALU_DEP_1) | instskip(NEXT) | instid1(VALU_DEP_1)
	v_mul_lo_u32 v4, v1, s57
	v_sub_nc_u32_e32 v0, v0, v4
	v_add_nc_u32_e32 v4, 1, v1
	s_delay_alu instid0(VALU_DEP_2) | instskip(SKIP_1) | instid1(VALU_DEP_2)
	v_subrev_nc_u32_e32 v5, s57, v0
	v_cmp_le_u32_e32 vcc_lo, s57, v0
	v_dual_cndmask_b32 v1, v1, v4 :: v_dual_cndmask_b32 v0, v0, v5
	v_ashrrev_i32_e32 v4, 31, v2
	s_delay_alu instid0(VALU_DEP_2) | instskip(NEXT) | instid1(VALU_DEP_3)
	v_add_nc_u32_e32 v5, 1, v1
	v_cmp_le_u32_e32 vcc_lo, s57, v0
	s_delay_alu instid0(VALU_DEP_3) | instskip(NEXT) | instid1(VALU_DEP_3)
	v_xor_b32_e32 v4, s63, v4
	v_cndmask_b32_e32 v0, v1, v5, vcc_lo
	s_delay_alu instid0(VALU_DEP_1) | instskip(NEXT) | instid1(VALU_DEP_1)
	v_xor_b32_e32 v0, v0, v4
	v_sub_nc_u32_e32 v1, v0, v4
	s_delay_alu instid0(VALU_DEP_1) | instskip(NEXT) | instid1(VALU_DEP_1)
	v_sub_nc_u32_e32 v0, 0, v1
	v_max_i32_e32 v0, v1, v0
	s_delay_alu instid0(VALU_DEP_1) | instskip(NEXT) | instid1(VALU_DEP_1)
	v_mul_hi_u32 v4, v0, v11
	v_mul_lo_u32 v5, v4, s58
	s_delay_alu instid0(VALU_DEP_1) | instskip(SKIP_1) | instid1(VALU_DEP_2)
	v_sub_nc_u32_e32 v0, v0, v5
	v_add_nc_u32_e32 v5, 1, v4
	v_subrev_nc_u32_e32 v6, s58, v0
	v_cmp_le_u32_e32 vcc_lo, s58, v0
	s_delay_alu instid0(VALU_DEP_3) | instskip(NEXT) | instid1(VALU_DEP_3)
	v_cndmask_b32_e32 v4, v4, v5, vcc_lo
	v_cndmask_b32_e32 v0, v0, v6, vcc_lo
	v_ashrrev_i32_e32 v5, 31, v1
	s_delay_alu instid0(VALU_DEP_3) | instskip(NEXT) | instid1(VALU_DEP_3)
	v_add_nc_u32_e32 v6, 1, v4
	v_cmp_le_u32_e32 vcc_lo, s58, v0
	s_delay_alu instid0(VALU_DEP_3) | instskip(NEXT) | instid1(VALU_DEP_3)
	v_xor_b32_e32 v5, s64, v5
	v_cndmask_b32_e32 v0, v4, v6, vcc_lo
	s_delay_alu instid0(VALU_DEP_1) | instskip(NEXT) | instid1(VALU_DEP_1)
	v_xor_b32_e32 v0, v0, v5
	v_sub_nc_u32_e32 v4, v0, v5
	s_delay_alu instid0(VALU_DEP_1) | instskip(NEXT) | instid1(VALU_DEP_1)
	v_sub_nc_u32_e32 v0, 0, v4
	v_max_i32_e32 v0, v4, v0
	s_delay_alu instid0(VALU_DEP_1) | instskip(NEXT) | instid1(VALU_DEP_1)
	v_mul_hi_u32 v5, v0, v12
	v_mul_lo_u32 v6, v5, s3
	s_delay_alu instid0(VALU_DEP_1) | instskip(SKIP_1) | instid1(VALU_DEP_2)
	v_sub_nc_u32_e32 v0, v0, v6
	v_add_nc_u32_e32 v6, 1, v5
	v_subrev_nc_u32_e32 v7, s3, v0
	v_cmp_le_u32_e32 vcc_lo, s3, v0
	s_delay_alu instid0(VALU_DEP_2) | instskip(SKIP_1) | instid1(VALU_DEP_2)
	v_dual_cndmask_b32 v5, v5, v6 :: v_dual_cndmask_b32 v0, v0, v7
	v_ashrrev_i32_e32 v6, 31, v4
	v_add_nc_u32_e32 v7, 1, v5
	s_delay_alu instid0(VALU_DEP_3) | instskip(NEXT) | instid1(VALU_DEP_3)
	v_cmp_le_u32_e32 vcc_lo, s3, v0
	v_xor_b32_e32 v6, s65, v6
	s_delay_alu instid0(VALU_DEP_3) | instskip(NEXT) | instid1(VALU_DEP_1)
	v_cndmask_b32_e32 v0, v5, v7, vcc_lo
	v_xor_b32_e32 v0, v0, v6
	s_delay_alu instid0(VALU_DEP_1) | instskip(NEXT) | instid1(VALU_DEP_1)
	v_sub_nc_u32_e32 v0, v0, v6
	v_sub_nc_u32_e32 v5, 0, v0
	s_delay_alu instid0(VALU_DEP_1) | instskip(NEXT) | instid1(VALU_DEP_1)
	v_max_i32_e32 v5, v0, v5
	v_mul_hi_u32 v6, v5, v13
	s_delay_alu instid0(VALU_DEP_1) | instskip(NEXT) | instid1(VALU_DEP_1)
	v_mul_lo_u32 v7, v6, s16
	v_sub_nc_u32_e32 v5, v5, v7
	v_add_nc_u32_e32 v7, 1, v6
	s_delay_alu instid0(VALU_DEP_2) | instskip(SKIP_1) | instid1(VALU_DEP_2)
	v_subrev_nc_u32_e32 v8, s16, v5
	v_cmp_le_u32_e32 vcc_lo, s16, v5
	v_dual_cndmask_b32 v6, v6, v7 :: v_dual_cndmask_b32 v5, v5, v8
	v_ashrrev_i32_e32 v7, 31, v0
	s_delay_alu instid0(VALU_DEP_2) | instskip(NEXT) | instid1(VALU_DEP_3)
	v_add_nc_u32_e32 v8, 1, v6
	v_cmp_le_u32_e32 vcc_lo, s16, v5
	s_delay_alu instid0(VALU_DEP_3) | instskip(NEXT) | instid1(VALU_DEP_3)
	v_xor_b32_e32 v7, s20, v7
	v_cndmask_b32_e32 v5, v6, v8, vcc_lo
	v_mul_lo_u32 v6, v1, s34
	v_mul_lo_u32 v8, v0, s22
	s_and_not1_b32 vcc_lo, exec_lo, s33
	s_delay_alu instid0(VALU_DEP_3) | instskip(NEXT) | instid1(VALU_DEP_3)
	v_xor_b32_e32 v5, v5, v7
	v_sub_nc_u32_e32 v15, v2, v6
	s_delay_alu instid0(VALU_DEP_2) | instskip(SKIP_2) | instid1(VALU_DEP_3)
	v_sub_nc_u32_e32 v18, v5, v7
	v_mul_lo_u32 v7, v4, s23
	v_sub_nc_u32_e32 v17, v4, v8
	v_mul_lo_u32 v5, v18, s21
	s_delay_alu instid0(VALU_DEP_3) | instskip(NEXT) | instid1(VALU_DEP_2)
	v_sub_nc_u32_e32 v16, v1, v7
	v_sub_nc_u32_e32 v0, v0, v5
	s_delay_alu instid0(VALU_DEP_1)
	v_ashrrev_i32_e32 v1, 31, v0
	s_cbranch_vccnz .LBB5_14
; %bb.4:                                ;   in Loop: Header=BB5_3 Depth=1
	v_sub_nc_u32_e32 v4, 0, v0
	v_mul_lo_u32 v9, v16, s5
	v_mul_lo_u32 v19, v15, s6
	;; [unrolled: 1-line block ×3, first 2 shown]
	s_mov_b32 s39, 0
	v_max_i32_e32 v4, v0, v4
	s_delay_alu instid0(VALU_DEP_3) | instskip(NEXT) | instid1(VALU_DEP_2)
	v_subrev_nc_u32_e32 v20, s9, v19
	v_mul_hi_u32 v5, v4, v14
	s_waitcnt lgkmcnt(0)
	s_delay_alu instid0(VALU_DEP_2) | instskip(NEXT) | instid1(VALU_DEP_2)
	v_mul_lo_u32 v27, s61, v20
	v_mul_lo_u32 v6, v5, s60
	s_delay_alu instid0(VALU_DEP_2) | instskip(NEXT) | instid1(VALU_DEP_2)
	v_ashrrev_i32_e32 v28, 31, v27
	v_sub_nc_u32_e32 v4, v4, v6
	v_add_nc_u32_e32 v6, 1, v5
	s_delay_alu instid0(VALU_DEP_2) | instskip(SKIP_1) | instid1(VALU_DEP_2)
	v_subrev_nc_u32_e32 v7, s60, v4
	v_cmp_le_u32_e32 vcc_lo, s60, v4
	v_dual_cndmask_b32 v5, v5, v6 :: v_dual_cndmask_b32 v4, v4, v7
	v_xor_b32_e32 v7, s66, v1
	s_delay_alu instid0(VALU_DEP_2) | instskip(NEXT) | instid1(VALU_DEP_3)
	v_add_nc_u32_e32 v6, 1, v5
	v_cmp_le_u32_e32 vcc_lo, s60, v4
	s_delay_alu instid0(VALU_DEP_2) | instskip(SKIP_2) | instid1(VALU_DEP_3)
	v_cndmask_b32_e32 v4, v5, v6, vcc_lo
	v_mul_lo_u32 v5, v17, s4
	v_mul_lo_u32 v6, s24, v18
	v_xor_b32_e32 v4, v4, v7
	s_delay_alu instid0(VALU_DEP_1) | instskip(NEXT) | instid1(VALU_DEP_4)
	v_sub_nc_u32_e32 v7, v4, v7
	v_subrev_nc_u32_e32 v4, s7, v5
	v_subrev_nc_u32_e32 v5, s8, v9
	v_ashrrev_i32_e32 v9, 31, v8
	s_delay_alu instid0(VALU_DEP_4) | instskip(SKIP_4) | instid1(VALU_DEP_4)
	v_mul_lo_u32 v21, s25, v7
	v_ashrrev_i32_e32 v7, 31, v6
	v_mul_lo_u32 v23, s26, v4
	v_mul_lo_u32 v25, s27, v5
	v_lshlrev_b64 v[8:9], 2, v[8:9]
	v_lshlrev_b64 v[6:7], 2, v[6:7]
	v_ashrrev_i32_e32 v22, 31, v21
	v_ashrrev_i32_e32 v24, 31, v23
	;; [unrolled: 1-line block ×3, first 2 shown]
	s_delay_alu instid0(VALU_DEP_4) | instskip(NEXT) | instid1(VALU_DEP_4)
	v_add_co_u32 v19, vcc_lo, s42, v6
	v_lshlrev_b64 v[21:22], 2, v[21:22]
	v_add_co_ci_u32_e32 v29, vcc_lo, s43, v7, vcc_lo
	v_lshlrev_b64 v[6:7], 2, v[23:24]
	s_delay_alu instid0(VALU_DEP_3) | instskip(NEXT) | instid1(VALU_DEP_3)
	v_add_co_u32 v19, vcc_lo, v19, v21
	v_add_co_ci_u32_e32 v23, vcc_lo, v29, v22, vcc_lo
	v_lshlrev_b64 v[21:22], 2, v[25:26]
	s_delay_alu instid0(VALU_DEP_3) | instskip(NEXT) | instid1(VALU_DEP_3)
	v_add_co_u32 v6, vcc_lo, v19, v6
	;; [unrolled: 4-line block ×3, first 2 shown]
	v_add_co_ci_u32_e32 v21, vcc_lo, v7, v22, vcc_lo
	v_add_co_u32 v6, vcc_lo, s46, v8
	v_add_co_ci_u32_e32 v7, vcc_lo, s47, v9, vcc_lo
	s_delay_alu instid0(VALU_DEP_4) | instskip(NEXT) | instid1(VALU_DEP_4)
	v_add_co_u32 v8, vcc_lo, v19, v23
	v_add_co_ci_u32_e32 v9, vcc_lo, v21, v24, vcc_lo
	v_mov_b32_e32 v19, 0
	s_branch .LBB5_6
.LBB5_5:                                ;   in Loop: Header=BB5_6 Depth=2
	s_set_inst_prefetch_distance 0x2
	v_add_co_u32 v8, vcc_lo, v8, s52
	v_add_co_ci_u32_e32 v9, vcc_lo, s53, v9, vcc_lo
	s_add_i32 s39, s39, 1
	s_delay_alu instid0(SALU_CYCLE_1)
	s_cmp_eq_u32 s39, s12
	s_cbranch_scc1 .LBB5_15
.LBB5_6:                                ;   Parent Loop BB5_3 Depth=1
                                        ; =>  This Loop Header: Depth=2
                                        ;       Child Loop BB5_9 Depth 3
                                        ;         Child Loop BB5_12 Depth 4
	s_and_not1_b32 vcc_lo, exec_lo, s54
	s_cbranch_vccnz .LBB5_5
; %bb.7:                                ;   in Loop: Header=BB5_6 Depth=2
	v_mad_u64_u32 v[21:22], null, s39, s10, v[4:5]
	s_mov_b32 s67, 0
	s_delay_alu instid0(VALU_DEP_1)
	v_cmp_lt_i32_e64 s0, -1, v21
	v_cmp_gt_i32_e64 s1, s17, v21
	s_set_inst_prefetch_distance 0x1
	s_branch .LBB5_9
	.p2align	6
.LBB5_8:                                ;   in Loop: Header=BB5_9 Depth=3
	v_add_co_u32 v8, vcc_lo, v8, s50
	v_add_co_ci_u32_e32 v9, vcc_lo, s51, v9, vcc_lo
	s_add_i32 s67, s67, 1
	s_delay_alu instid0(SALU_CYCLE_1)
	s_cmp_eq_u32 s67, s13
	s_cbranch_scc1 .LBB5_5
.LBB5_9:                                ;   Parent Loop BB5_3 Depth=1
                                        ;     Parent Loop BB5_6 Depth=2
                                        ; =>    This Loop Header: Depth=3
                                        ;         Child Loop BB5_12 Depth 4
	s_and_not1_b32 vcc_lo, exec_lo, s55
	s_cbranch_vccnz .LBB5_8
; %bb.10:                               ;   in Loop: Header=BB5_9 Depth=3
	v_mad_u64_u32 v[22:23], null, s67, s11, v[5:6]
	v_mov_b32_e32 v21, v20
	s_mov_b32 s69, s14
	s_delay_alu instid0(VALU_DEP_2) | instskip(SKIP_1) | instid1(VALU_DEP_2)
	v_cmp_lt_i32_e64 s2, -1, v22
	v_cmp_gt_i32_e32 vcc_lo, s18, v22
	s_and_b32 s68, s0, s2
	s_branch .LBB5_12
	.p2align	6
.LBB5_11:                               ;   in Loop: Header=BB5_12 Depth=4
	s_or_b32 exec_lo, exec_lo, s2
	v_add_co_u32 v6, s2, v6, 4
	s_delay_alu instid0(VALU_DEP_1) | instskip(SKIP_4) | instid1(SALU_CYCLE_1)
	v_add_co_ci_u32_e64 v7, s2, 0, v7, s2
	v_add_co_u32 v8, s2, v8, s48
	v_add_nc_u32_e32 v21, s38, v21
	v_add_co_ci_u32_e64 v9, s2, s49, v9, s2
	s_add_i32 s69, s69, -1
	s_cmp_eq_u32 s69, 0
	s_cbranch_scc1 .LBB5_8
.LBB5_12:                               ;   Parent Loop BB5_3 Depth=1
                                        ;     Parent Loop BB5_6 Depth=2
                                        ;       Parent Loop BB5_9 Depth=3
                                        ; =>      This Inner Loop Header: Depth=4
	v_cmp_lt_i32_e64 s2, -1, v21
	s_delay_alu instid0(VALU_DEP_1) | instskip(SKIP_2) | instid1(SALU_CYCLE_1)
	s_and_b32 s70, s68, s2
	v_cmp_gt_i32_e64 s2, s19, v21
	s_and_b32 s70, s70, s1
	s_and_b32 s70, s70, vcc_lo
	s_delay_alu instid0(VALU_DEP_1) | instid1(SALU_CYCLE_1)
	s_and_b32 s70, s70, s2
	s_delay_alu instid0(SALU_CYCLE_1)
	s_and_saveexec_b32 s2, s70
	s_cbranch_execz .LBB5_11
; %bb.13:                               ;   in Loop: Header=BB5_12 Depth=4
	global_load_b32 v22, v[6:7], off
	global_load_b32 v23, v[8:9], off
	s_waitcnt vmcnt(0)
	v_fmac_f32_e32 v19, v22, v23
	s_branch .LBB5_11
.LBB5_14:                               ;   in Loop: Header=BB5_3 Depth=1
	v_mov_b32_e32 v19, 0
.LBB5_15:                               ;   in Loop: Header=BB5_3 Depth=1
	s_and_b32 vcc_lo, exec_lo, s56
	s_cbranch_vccz .LBB5_2
; %bb.16:                               ;   in Loop: Header=BB5_3 Depth=1
	v_lshlrev_b64 v[4:5], 2, v[0:1]
	s_delay_alu instid0(VALU_DEP_1) | instskip(NEXT) | instid1(VALU_DEP_2)
	v_add_co_u32 v4, vcc_lo, s40, v4
	v_add_co_ci_u32_e32 v5, vcc_lo, s41, v5, vcc_lo
	global_load_b32 v1, v[4:5], off
	s_waitcnt vmcnt(0)
	v_add_f32_e32 v19, v19, v1
	s_branch .LBB5_2
.LBB5_17:
	s_nop 0
	s_sendmsg sendmsg(MSG_DEALLOC_VGPRS)
	s_endpgm
	.section	.rodata,"a",@progbits
	.p2align	6, 0x0
	.amdhsa_kernel _ZN2at6native12_GLOBAL__N_128conv_depthwise3d_cuda_kernelIffLin1ELin1ELin1ELin1ELin1ELin1EEEvN5torch10headeronly6detail27GenericPackedTensorAccessorINS5_14TensorAccessorIN3c108ArrayRefIlEEKT_Lm4ENS4_16DefaultPtrTraitsEiEENS_6detail16IndexBoundsCheckILm5EiEESC_Lm5ESD_iEENS6_INS7_ISA_SB_Lm4ESD_iEESH_SB_Lm5ESD_iEESI_PSC_iiiiiiiii
		.amdhsa_group_segment_fixed_size 0
		.amdhsa_private_segment_fixed_size 0
		.amdhsa_kernarg_size 448
		.amdhsa_user_sgpr_count 15
		.amdhsa_user_sgpr_dispatch_ptr 0
		.amdhsa_user_sgpr_queue_ptr 0
		.amdhsa_user_sgpr_kernarg_segment_ptr 1
		.amdhsa_user_sgpr_dispatch_id 0
		.amdhsa_user_sgpr_private_segment_size 0
		.amdhsa_wavefront_size32 1
		.amdhsa_uses_dynamic_stack 0
		.amdhsa_enable_private_segment 0
		.amdhsa_system_sgpr_workgroup_id_x 1
		.amdhsa_system_sgpr_workgroup_id_y 0
		.amdhsa_system_sgpr_workgroup_id_z 0
		.amdhsa_system_sgpr_workgroup_info 0
		.amdhsa_system_vgpr_workitem_id 0
		.amdhsa_next_free_vgpr 30
		.amdhsa_next_free_sgpr 71
		.amdhsa_reserve_vcc 1
		.amdhsa_float_round_mode_32 0
		.amdhsa_float_round_mode_16_64 0
		.amdhsa_float_denorm_mode_32 3
		.amdhsa_float_denorm_mode_16_64 3
		.amdhsa_dx10_clamp 1
		.amdhsa_ieee_mode 1
		.amdhsa_fp16_overflow 0
		.amdhsa_workgroup_processor_mode 1
		.amdhsa_memory_ordered 1
		.amdhsa_forward_progress 0
		.amdhsa_shared_vgpr_count 0
		.amdhsa_exception_fp_ieee_invalid_op 0
		.amdhsa_exception_fp_denorm_src 0
		.amdhsa_exception_fp_ieee_div_zero 0
		.amdhsa_exception_fp_ieee_overflow 0
		.amdhsa_exception_fp_ieee_underflow 0
		.amdhsa_exception_fp_ieee_inexact 0
		.amdhsa_exception_int_div_zero 0
	.end_amdhsa_kernel
	.section	.text._ZN2at6native12_GLOBAL__N_128conv_depthwise3d_cuda_kernelIffLin1ELin1ELin1ELin1ELin1ELin1EEEvN5torch10headeronly6detail27GenericPackedTensorAccessorINS5_14TensorAccessorIN3c108ArrayRefIlEEKT_Lm4ENS4_16DefaultPtrTraitsEiEENS_6detail16IndexBoundsCheckILm5EiEESC_Lm5ESD_iEENS6_INS7_ISA_SB_Lm4ESD_iEESH_SB_Lm5ESD_iEESI_PSC_iiiiiiiii,"axG",@progbits,_ZN2at6native12_GLOBAL__N_128conv_depthwise3d_cuda_kernelIffLin1ELin1ELin1ELin1ELin1ELin1EEEvN5torch10headeronly6detail27GenericPackedTensorAccessorINS5_14TensorAccessorIN3c108ArrayRefIlEEKT_Lm4ENS4_16DefaultPtrTraitsEiEENS_6detail16IndexBoundsCheckILm5EiEESC_Lm5ESD_iEENS6_INS7_ISA_SB_Lm4ESD_iEESH_SB_Lm5ESD_iEESI_PSC_iiiiiiiii,comdat
.Lfunc_end5:
	.size	_ZN2at6native12_GLOBAL__N_128conv_depthwise3d_cuda_kernelIffLin1ELin1ELin1ELin1ELin1ELin1EEEvN5torch10headeronly6detail27GenericPackedTensorAccessorINS5_14TensorAccessorIN3c108ArrayRefIlEEKT_Lm4ENS4_16DefaultPtrTraitsEiEENS_6detail16IndexBoundsCheckILm5EiEESC_Lm5ESD_iEENS6_INS7_ISA_SB_Lm4ESD_iEESH_SB_Lm5ESD_iEESI_PSC_iiiiiiiii, .Lfunc_end5-_ZN2at6native12_GLOBAL__N_128conv_depthwise3d_cuda_kernelIffLin1ELin1ELin1ELin1ELin1ELin1EEEvN5torch10headeronly6detail27GenericPackedTensorAccessorINS5_14TensorAccessorIN3c108ArrayRefIlEEKT_Lm4ENS4_16DefaultPtrTraitsEiEENS_6detail16IndexBoundsCheckILm5EiEESC_Lm5ESD_iEENS6_INS7_ISA_SB_Lm4ESD_iEESH_SB_Lm5ESD_iEESI_PSC_iiiiiiiii
                                        ; -- End function
	.section	.AMDGPU.csdata,"",@progbits
; Kernel info:
; codeLenInByte = 2132
; NumSgprs: 73
; NumVgprs: 30
; ScratchSize: 0
; MemoryBound: 0
; FloatMode: 240
; IeeeMode: 1
; LDSByteSize: 0 bytes/workgroup (compile time only)
; SGPRBlocks: 9
; VGPRBlocks: 3
; NumSGPRsForWavesPerEU: 73
; NumVGPRsForWavesPerEU: 30
; Occupancy: 16
; WaveLimiterHint : 0
; COMPUTE_PGM_RSRC2:SCRATCH_EN: 0
; COMPUTE_PGM_RSRC2:USER_SGPR: 15
; COMPUTE_PGM_RSRC2:TRAP_HANDLER: 0
; COMPUTE_PGM_RSRC2:TGID_X_EN: 1
; COMPUTE_PGM_RSRC2:TGID_Y_EN: 0
; COMPUTE_PGM_RSRC2:TGID_Z_EN: 0
; COMPUTE_PGM_RSRC2:TIDIG_COMP_CNT: 0
	.section	.text._ZN2at6native12_GLOBAL__N_128conv_depthwise3d_cuda_kernelIN3c104HalfEfLi3ELi3ELi3ELi1ELi1ELi1EEEvN5torch10headeronly6detail27GenericPackedTensorAccessorINS7_14TensorAccessorINS3_8ArrayRefIlEEKT_Lm4ENS6_16DefaultPtrTraitsEiEENS_6detail16IndexBoundsCheckILm5EiEESD_Lm5ESE_iEENS8_INS9_ISB_SC_Lm4ESE_iEESI_SC_Lm5ESE_iEESJ_PSD_iiiiiiiii,"axG",@progbits,_ZN2at6native12_GLOBAL__N_128conv_depthwise3d_cuda_kernelIN3c104HalfEfLi3ELi3ELi3ELi1ELi1ELi1EEEvN5torch10headeronly6detail27GenericPackedTensorAccessorINS7_14TensorAccessorINS3_8ArrayRefIlEEKT_Lm4ENS6_16DefaultPtrTraitsEiEENS_6detail16IndexBoundsCheckILm5EiEESD_Lm5ESE_iEENS8_INS9_ISB_SC_Lm4ESE_iEESI_SC_Lm5ESE_iEESJ_PSD_iiiiiiiii,comdat
	.globl	_ZN2at6native12_GLOBAL__N_128conv_depthwise3d_cuda_kernelIN3c104HalfEfLi3ELi3ELi3ELi1ELi1ELi1EEEvN5torch10headeronly6detail27GenericPackedTensorAccessorINS7_14TensorAccessorINS3_8ArrayRefIlEEKT_Lm4ENS6_16DefaultPtrTraitsEiEENS_6detail16IndexBoundsCheckILm5EiEESD_Lm5ESE_iEENS8_INS9_ISB_SC_Lm4ESE_iEESI_SC_Lm5ESE_iEESJ_PSD_iiiiiiiii ; -- Begin function _ZN2at6native12_GLOBAL__N_128conv_depthwise3d_cuda_kernelIN3c104HalfEfLi3ELi3ELi3ELi1ELi1ELi1EEEvN5torch10headeronly6detail27GenericPackedTensorAccessorINS7_14TensorAccessorINS3_8ArrayRefIlEEKT_Lm4ENS6_16DefaultPtrTraitsEiEENS_6detail16IndexBoundsCheckILm5EiEESD_Lm5ESE_iEENS8_INS9_ISB_SC_Lm4ESE_iEESI_SC_Lm5ESE_iEESJ_PSD_iiiiiiiii
	.p2align	8
	.type	_ZN2at6native12_GLOBAL__N_128conv_depthwise3d_cuda_kernelIN3c104HalfEfLi3ELi3ELi3ELi1ELi1ELi1EEEvN5torch10headeronly6detail27GenericPackedTensorAccessorINS7_14TensorAccessorINS3_8ArrayRefIlEEKT_Lm4ENS6_16DefaultPtrTraitsEiEENS_6detail16IndexBoundsCheckILm5EiEESD_Lm5ESE_iEENS8_INS9_ISB_SC_Lm4ESE_iEESI_SC_Lm5ESE_iEESJ_PSD_iiiiiiiii,@function
_ZN2at6native12_GLOBAL__N_128conv_depthwise3d_cuda_kernelIN3c104HalfEfLi3ELi3ELi3ELi1ELi1ELi1EEEvN5torch10headeronly6detail27GenericPackedTensorAccessorINS7_14TensorAccessorINS3_8ArrayRefIlEEKT_Lm4ENS6_16DefaultPtrTraitsEiEENS_6detail16IndexBoundsCheckILm5EiEESD_Lm5ESE_iEENS8_INS9_ISB_SC_Lm4ESE_iEESI_SC_Lm5ESE_iEESJ_PSD_iiiiiiiii: ; @_ZN2at6native12_GLOBAL__N_128conv_depthwise3d_cuda_kernelIN3c104HalfEfLi3ELi3ELi3ELi1ELi1ELi1EEEvN5torch10headeronly6detail27GenericPackedTensorAccessorINS7_14TensorAccessorINS3_8ArrayRefIlEEKT_Lm4ENS6_16DefaultPtrTraitsEiEENS_6detail16IndexBoundsCheckILm5EiEESD_Lm5ESE_iEENS8_INS9_ISB_SC_Lm4ESE_iEESI_SC_Lm5ESE_iEESJ_PSD_iiiiiiiii
; %bb.0:
	s_clause 0x3
	s_load_b128 s[16:19], s[0:1], 0xc
	s_load_b64 s[34:35], s[0:1], 0x48
	s_load_b32 s3, s[0:1], 0xcc
	s_load_b128 s[20:23], s[0:1], 0x38
	v_mov_b32_e32 v7, 0
	s_mov_b32 s7, exec_lo
	s_waitcnt lgkmcnt(0)
	s_abs_i32 s2, s16
	s_add_u32 s4, s0, 0xc0
	v_cvt_f32_u32_e32 v1, s2
	s_addc_u32 s5, s1, 0
	s_and_b32 s6, s3, 0xffff
	s_mul_i32 s14, s35, s20
	s_mul_i32 s33, s6, s15
	v_rcp_iflag_f32_e32 v1, v1
	s_mul_hi_u32 s20, s6, s15
	s_ashr_i32 s15, s14, 31
	s_waitcnt_depctr 0xfff
	v_mul_f32_e32 v3, 0x4f7ffffe, v1
	v_add_co_u32 v1, s3, s33, v0
	s_delay_alu instid0(VALU_DEP_1) | instskip(NEXT) | instid1(VALU_DEP_3)
	v_add_co_ci_u32_e64 v2, null, s20, 0, s3
	v_cvt_u32_f32_e32 v3, v3
	s_delay_alu instid0(VALU_DEP_1) | instskip(NEXT) | instid1(VALU_DEP_3)
	v_readfirstlane_b32 s3, v3
	v_cmpx_gt_i64_e64 s[14:15], v[1:2]
	s_cbranch_execz .LBB6_59
; %bb.1:
	s_sub_i32 s7, 0, s2
	s_abs_i32 s54, s21
	s_mul_i32 s7, s7, s3
	s_load_b64 s[40:41], s[0:1], 0x90
	s_mul_hi_u32 s7, s3, s7
	s_ashr_i32 s55, s21, 31
	s_add_i32 s3, s3, s7
	s_ashr_i32 s7, s16, 31
	s_load_b32 s16, s[0:1], 0x7c
	s_mul_hi_u32 s3, s54, s3
	s_xor_b32 s7, s55, s7
	s_mul_i32 s8, s3, s2
	s_add_i32 s9, s3, 1
	s_sub_i32 s8, s54, s8
	v_cvt_f32_u32_e32 v4, s54
	s_sub_i32 s10, s8, s2
	s_cmp_ge_u32 s8, s2
	s_clause 0x1
	s_load_b128 s[24:27], s[0:1], 0x98
	s_load_b64 s[42:43], s[0:1], 0xa8
	s_load_b32 s4, s[4:5], 0x0
	s_cselect_b32 s3, s9, s3
	s_cselect_b32 s8, s10, s8
	s_add_i32 s9, s3, 1
	s_cmp_ge_u32 s8, s2
	v_rcp_iflag_f32_e32 v4, v4
	s_cselect_b32 s2, s9, s3
	s_add_i32 s3, s18, -3
	s_xor_b32 s8, s2, s7
	s_mul_i32 s2, s19, s3
	s_sub_i32 s7, s8, s7
	s_ashr_i32 s3, s2, 31
	s_waitcnt lgkmcnt(0)
	s_cmp_lg_u64 s[40:41], 0
	s_clause 0x1
	s_load_b64 s[44:45], s[0:1], 0x0
	s_load_b128 s[28:31], s[0:1], 0x1c
	s_cselect_b32 s56, -1, 0
	s_abs_i32 s57, s34
	s_abs_i32 s59, s23
	v_cvt_f32_u32_e32 v1, s57
	v_cvt_f32_u32_e32 v2, s59
	s_abs_i32 s60, s22
	s_abs_i32 s61, s7
	v_cvt_f32_u32_e32 v3, s60
	v_rcp_iflag_f32_e32 v1, v1
	v_rcp_iflag_f32_e32 v2, v2
	v_cvt_f32_u32_e32 v5, s61
	s_sub_i32 s5, 0, s57
	v_rcp_iflag_f32_e32 v3, v3
	s_clause 0x3
	s_load_b32 s62, s[0:1], 0x2c
	s_load_b64 s[46:47], s[0:1], 0x30
	s_load_b64 s[48:49], s[0:1], 0x60
	s_load_b128 s[36:39], s[0:1], 0x50
	v_rcp_iflag_f32_e32 v5, v5
	s_sub_i32 s0, 0, s59
	v_dual_mul_f32 v4, 0x4f7ffffe, v4 :: v_dual_mul_f32 v1, 0x4f7ffffe, v1
	v_mul_f32_e32 v2, 0x4f7ffffe, v2
	s_sub_i32 s1, 0, s61
	s_mov_b32 s58, 0
	s_waitcnt_depctr 0xfff
	v_mul_f32_e32 v3, 0x4f7ffffe, v3
	v_cvt_u32_f32_e32 v1, v1
	v_cvt_u32_f32_e32 v2, v2
	;; [unrolled: 1-line block ×3, first 2 shown]
	s_mul_i32 s63, s4, s6
	v_cvt_u32_f32_e32 v3, v3
	v_mul_lo_u32 v6, s5, v1
	v_mul_lo_u32 v8, s0, v2
	s_sub_i32 s0, 0, s60
	s_ashr_i32 s64, s34, 31
	v_mul_lo_u32 v9, s0, v3
	s_sub_i32 s0, 0, s54
	s_ashr_i32 s65, s23, 31
	v_mul_lo_u32 v10, s0, v4
	v_mul_hi_u32 v6, v1, v6
	v_mul_f32_e32 v5, 0x4f7ffffe, v5
	v_mul_hi_u32 v12, v2, v8
	s_mov_b32 s0, s19
	v_mul_hi_u32 v13, v3, v9
	s_ashr_i32 s66, s22, 31
	s_ashr_i32 s67, s7, 31
	v_mul_hi_u32 v14, v4, v10
	v_add_nc_u32_e32 v8, v1, v6
	v_cvt_u32_f32_e32 v5, v5
	v_add_nc_u32_e32 v9, v2, v12
	s_lshl_b64 s[52:53], s[2:3], 1
	v_add_nc_u32_e32 v10, v3, v13
	s_delay_alu instid0(VALU_DEP_3) | instskip(SKIP_1) | instid1(SALU_CYCLE_1)
	v_mul_lo_u32 v11, s1, v5
	s_ashr_i32 s1, s19, 31
	s_lshl_b64 s[50:51], s[0:1], 1
	s_delay_alu instid0(VALU_DEP_1) | instskip(SKIP_1) | instid1(VALU_DEP_2)
	v_mul_hi_u32 v15, v5, v11
	v_add_nc_u32_e32 v11, v4, v14
	v_add_nc_u32_e32 v12, v5, v15
	s_branch .LBB6_3
.LBB6_2:                                ;   in Loop: Header=BB6_3 Depth=1
	v_mul_lo_u32 v2, v14, s35
	v_mul_lo_u32 v4, s36, v1
	;; [unrolled: 1-line block ×5, first 2 shown]
	v_cvt_f16_f32_e32 v13, v17
	v_ashrrev_i32_e32 v3, 31, v2
	v_ashrrev_i32_e32 v5, 31, v4
	;; [unrolled: 1-line block ×4, first 2 shown]
	s_delay_alu instid0(VALU_DEP_4) | instskip(SKIP_2) | instid1(VALU_DEP_2)
	v_lshlrev_b64 v[18:19], 1, v[2:3]
	v_ashrrev_i32_e32 v2, 31, v1
	v_lshlrev_b64 v[3:4], 1, v[4:5]
	v_lshlrev_b64 v[1:2], 1, v[1:2]
	s_delay_alu instid0(VALU_DEP_4) | instskip(SKIP_1) | instid1(VALU_DEP_2)
	v_add_co_u32 v5, vcc_lo, s46, v18
	v_add_co_ci_u32_e32 v6, vcc_lo, s47, v19, vcc_lo
	v_add_co_u32 v5, vcc_lo, v5, v3
	s_delay_alu instid0(VALU_DEP_2) | instskip(SKIP_1) | instid1(VALU_DEP_3)
	v_add_co_ci_u32_e32 v6, vcc_lo, v6, v4, vcc_lo
	v_lshlrev_b64 v[3:4], 1, v[14:15]
	v_add_co_u32 v14, vcc_lo, v5, v1
	s_delay_alu instid0(VALU_DEP_3) | instskip(SKIP_3) | instid1(VALU_DEP_3)
	v_add_co_ci_u32_e32 v15, vcc_lo, v6, v2, vcc_lo
	v_add_co_u32 v0, vcc_lo, v0, s63
	v_add_co_ci_u32_e32 v7, vcc_lo, 0, v7, vcc_lo
	v_lshlrev_b64 v[1:2], 1, v[16:17]
	v_add_co_u32 v5, vcc_lo, s33, v0
	s_delay_alu instid0(VALU_DEP_3) | instskip(SKIP_2) | instid1(VALU_DEP_3)
	v_add_co_ci_u32_e32 v6, vcc_lo, s20, v7, vcc_lo
	v_add_co_u32 v3, vcc_lo, v14, v3
	v_add_co_ci_u32_e32 v4, vcc_lo, v15, v4, vcc_lo
	v_cmp_le_i64_e32 vcc_lo, s[14:15], v[5:6]
	s_delay_alu instid0(VALU_DEP_3) | instskip(NEXT) | instid1(VALU_DEP_1)
	v_add_co_u32 v1, s0, v3, v1
	v_add_co_ci_u32_e64 v2, s0, v4, v2, s0
	s_or_b32 s58, vcc_lo, s58
	global_store_b16 v[1:2], v13, off
	s_and_not1_b32 exec_lo, exec_lo, s58
	s_cbranch_execz .LBB6_59
.LBB6_3:                                ; =>This Inner Loop Header: Depth=1
	v_add_nc_u32_e32 v2, s33, v0
	s_delay_alu instid0(VALU_DEP_1) | instskip(NEXT) | instid1(VALU_DEP_1)
	v_sub_nc_u32_e32 v1, 0, v2
	v_max_i32_e32 v1, v2, v1
	s_delay_alu instid0(VALU_DEP_1) | instskip(NEXT) | instid1(VALU_DEP_1)
	v_mul_hi_u32 v3, v1, v8
	v_mul_lo_u32 v4, v3, s57
	s_delay_alu instid0(VALU_DEP_1) | instskip(SKIP_1) | instid1(VALU_DEP_2)
	v_sub_nc_u32_e32 v1, v1, v4
	v_add_nc_u32_e32 v4, 1, v3
	v_subrev_nc_u32_e32 v5, s57, v1
	v_cmp_le_u32_e32 vcc_lo, s57, v1
	s_delay_alu instid0(VALU_DEP_3) | instskip(NEXT) | instid1(VALU_DEP_3)
	v_cndmask_b32_e32 v3, v3, v4, vcc_lo
	v_cndmask_b32_e32 v1, v1, v5, vcc_lo
	v_ashrrev_i32_e32 v4, 31, v2
	s_delay_alu instid0(VALU_DEP_3) | instskip(NEXT) | instid1(VALU_DEP_3)
	v_add_nc_u32_e32 v5, 1, v3
	v_cmp_le_u32_e32 vcc_lo, s57, v1
	s_delay_alu instid0(VALU_DEP_3) | instskip(NEXT) | instid1(VALU_DEP_3)
	v_xor_b32_e32 v4, s64, v4
	v_cndmask_b32_e32 v1, v3, v5, vcc_lo
	s_delay_alu instid0(VALU_DEP_1) | instskip(NEXT) | instid1(VALU_DEP_1)
	v_xor_b32_e32 v1, v1, v4
	v_sub_nc_u32_e32 v3, v1, v4
	s_delay_alu instid0(VALU_DEP_1) | instskip(NEXT) | instid1(VALU_DEP_1)
	v_sub_nc_u32_e32 v1, 0, v3
	v_max_i32_e32 v1, v3, v1
	s_delay_alu instid0(VALU_DEP_1) | instskip(NEXT) | instid1(VALU_DEP_1)
	v_mul_hi_u32 v4, v1, v9
	v_mul_lo_u32 v5, v4, s59
	s_delay_alu instid0(VALU_DEP_1) | instskip(SKIP_1) | instid1(VALU_DEP_2)
	v_sub_nc_u32_e32 v1, v1, v5
	v_add_nc_u32_e32 v5, 1, v4
	v_subrev_nc_u32_e32 v6, s59, v1
	v_cmp_le_u32_e32 vcc_lo, s59, v1
	s_delay_alu instid0(VALU_DEP_2) | instskip(SKIP_1) | instid1(VALU_DEP_2)
	v_dual_cndmask_b32 v4, v4, v5 :: v_dual_cndmask_b32 v1, v1, v6
	v_ashrrev_i32_e32 v5, 31, v3
	v_add_nc_u32_e32 v6, 1, v4
	s_delay_alu instid0(VALU_DEP_3) | instskip(NEXT) | instid1(VALU_DEP_3)
	v_cmp_le_u32_e32 vcc_lo, s59, v1
	v_xor_b32_e32 v5, s65, v5
	s_delay_alu instid0(VALU_DEP_3) | instskip(NEXT) | instid1(VALU_DEP_1)
	v_cndmask_b32_e32 v1, v4, v6, vcc_lo
	v_xor_b32_e32 v1, v1, v5
	s_delay_alu instid0(VALU_DEP_1) | instskip(NEXT) | instid1(VALU_DEP_1)
	v_sub_nc_u32_e32 v4, v1, v5
	v_sub_nc_u32_e32 v1, 0, v4
	s_delay_alu instid0(VALU_DEP_1) | instskip(NEXT) | instid1(VALU_DEP_1)
	v_max_i32_e32 v1, v4, v1
	v_mul_hi_u32 v5, v1, v10
	s_delay_alu instid0(VALU_DEP_1) | instskip(NEXT) | instid1(VALU_DEP_1)
	v_mul_lo_u32 v6, v5, s60
	v_sub_nc_u32_e32 v1, v1, v6
	v_add_nc_u32_e32 v6, 1, v5
	s_delay_alu instid0(VALU_DEP_2) | instskip(SKIP_1) | instid1(VALU_DEP_3)
	v_subrev_nc_u32_e32 v13, s60, v1
	v_cmp_le_u32_e32 vcc_lo, s60, v1
	v_cndmask_b32_e32 v5, v5, v6, vcc_lo
	s_delay_alu instid0(VALU_DEP_3) | instskip(SKIP_1) | instid1(VALU_DEP_3)
	v_cndmask_b32_e32 v1, v1, v13, vcc_lo
	v_ashrrev_i32_e32 v6, 31, v4
	v_add_nc_u32_e32 v13, 1, v5
	s_delay_alu instid0(VALU_DEP_3) | instskip(NEXT) | instid1(VALU_DEP_3)
	v_cmp_le_u32_e32 vcc_lo, s60, v1
	v_xor_b32_e32 v6, s66, v6
	s_delay_alu instid0(VALU_DEP_3) | instskip(NEXT) | instid1(VALU_DEP_1)
	v_cndmask_b32_e32 v1, v5, v13, vcc_lo
	v_xor_b32_e32 v1, v1, v6
	s_delay_alu instid0(VALU_DEP_1) | instskip(NEXT) | instid1(VALU_DEP_1)
	v_sub_nc_u32_e32 v5, v1, v6
	v_sub_nc_u32_e32 v1, 0, v5
	s_delay_alu instid0(VALU_DEP_1) | instskip(NEXT) | instid1(VALU_DEP_1)
	v_max_i32_e32 v1, v5, v1
	v_mul_hi_u32 v6, v1, v11
	s_delay_alu instid0(VALU_DEP_1) | instskip(NEXT) | instid1(VALU_DEP_1)
	v_mul_lo_u32 v13, v6, s54
	v_sub_nc_u32_e32 v1, v1, v13
	v_add_nc_u32_e32 v13, 1, v6
	s_delay_alu instid0(VALU_DEP_2) | instskip(SKIP_1) | instid1(VALU_DEP_2)
	v_subrev_nc_u32_e32 v14, s54, v1
	v_cmp_le_u32_e32 vcc_lo, s54, v1
	v_dual_cndmask_b32 v6, v6, v13 :: v_dual_cndmask_b32 v1, v1, v14
	v_ashrrev_i32_e32 v13, 31, v5
	s_delay_alu instid0(VALU_DEP_2) | instskip(NEXT) | instid1(VALU_DEP_3)
	v_add_nc_u32_e32 v14, 1, v6
	v_cmp_le_u32_e32 vcc_lo, s54, v1
	s_delay_alu instid0(VALU_DEP_3) | instskip(NEXT) | instid1(VALU_DEP_3)
	v_xor_b32_e32 v13, s55, v13
	v_cndmask_b32_e32 v1, v6, v14, vcc_lo
	s_delay_alu instid0(VALU_DEP_1) | instskip(NEXT) | instid1(VALU_DEP_1)
	v_xor_b32_e32 v1, v1, v13
	v_sub_nc_u32_e32 v14, v1, v13
	v_mul_lo_u32 v13, v3, s34
	s_delay_alu instid0(VALU_DEP_2) | instskip(NEXT) | instid1(VALU_DEP_2)
	v_mul_lo_u32 v1, v14, s21
	v_sub_nc_u32_e32 v13, v2, v13
	v_mul_lo_u32 v2, v4, s23
	s_delay_alu instid0(VALU_DEP_3) | instskip(NEXT) | instid1(VALU_DEP_3)
	v_sub_nc_u32_e32 v1, v5, v1
	v_mul_lo_u32 v18, v13, s26
	v_mul_lo_u32 v5, v5, s22
	s_delay_alu instid0(VALU_DEP_3) | instskip(SKIP_3) | instid1(VALU_DEP_4)
	v_sub_nc_u32_e32 v6, 0, v1
	v_sub_nc_u32_e32 v15, v3, v2
	v_mul_lo_u32 v27, s16, v1
	v_subrev_nc_u32_e32 v20, s43, v18
	v_max_i32_e32 v6, v1, v6
	s_waitcnt lgkmcnt(0)
	s_delay_alu instid0(VALU_DEP_2) | instskip(NEXT) | instid1(VALU_DEP_2)
	v_mul_lo_u32 v3, s62, v20
	v_mul_hi_u32 v16, v6, v12
	v_cmp_lt_i32_e64 s0, -1, v20
	s_delay_alu instid0(VALU_DEP_2) | instskip(SKIP_1) | instid1(VALU_DEP_2)
	v_mul_lo_u32 v17, v16, s61
	v_add_nc_u32_e32 v2, 1, v16
	v_sub_nc_u32_e32 v6, v6, v17
	v_mul_lo_u32 v17, v15, s25
	s_delay_alu instid0(VALU_DEP_2) | instskip(SKIP_1) | instid1(VALU_DEP_3)
	v_subrev_nc_u32_e32 v18, s61, v6
	v_cmp_le_u32_e32 vcc_lo, s61, v6
	v_subrev_nc_u32_e32 v19, s42, v17
	v_cndmask_b32_e32 v21, v16, v2, vcc_lo
	s_delay_alu instid0(VALU_DEP_4)
	v_cndmask_b32_e32 v6, v6, v18, vcc_lo
	v_ashrrev_i32_e32 v2, 31, v1
	v_sub_nc_u32_e32 v16, v4, v5
	v_ashrrev_i32_e32 v4, 31, v3
	v_add_nc_u32_e32 v18, 1, v21
	v_cmp_le_u32_e32 vcc_lo, s61, v6
	v_xor_b32_e32 v17, s67, v2
	v_cmp_lt_i32_e64 s6, -1, v19
	v_mul_lo_u32 v5, s31, v19
	v_cmp_gt_i32_e64 s5, s18, v19
	v_cndmask_b32_e32 v6, v21, v18, vcc_lo
	v_mul_lo_u32 v18, v16, s24
	v_lshlrev_b64 v[21:22], 1, v[3:4]
	v_mul_lo_u32 v3, s28, v14
	v_cmp_gt_i32_e32 vcc_lo, s19, v20
	v_xor_b32_e32 v6, v6, v17
	v_subrev_nc_u32_e32 v18, s27, v18
	s_delay_alu instid0(VALU_DEP_2) | instskip(SKIP_1) | instid1(VALU_DEP_3)
	v_sub_nc_u32_e32 v4, v6, v17
	v_ashrrev_i32_e32 v6, 31, v5
	v_cmp_lt_i32_e64 s8, -1, v18
	s_delay_alu instid0(VALU_DEP_3)
	v_mul_lo_u32 v23, s29, v4
	v_ashrrev_i32_e32 v4, 31, v3
	v_mul_lo_u32 v25, s30, v18
	v_cmp_gt_i32_e64 s11, s17, v18
	s_and_b32 s4, s8, s6
	v_lshlrev_b64 v[5:6], 1, v[5:6]
	v_lshlrev_b64 v[3:4], 1, v[3:4]
	s_and_b32 s1, s4, s0
	v_ashrrev_i32_e32 v24, 31, v23
	s_and_b32 s2, s1, s11
	v_ashrrev_i32_e32 v26, 31, v25
	s_delay_alu instid0(VALU_DEP_3) | instskip(NEXT) | instid1(VALU_DEP_3)
	v_add_co_u32 v17, s1, s44, v3
	v_lshlrev_b64 v[23:24], 1, v[23:24]
	v_add_co_ci_u32_e64 v28, s1, s45, v4, s1
	s_delay_alu instid0(VALU_DEP_4) | instskip(NEXT) | instid1(VALU_DEP_3)
	v_lshlrev_b64 v[3:4], 1, v[25:26]
	v_add_co_u32 v17, s1, v17, v23
	s_delay_alu instid0(VALU_DEP_1) | instskip(SKIP_1) | instid1(VALU_DEP_3)
	v_add_co_ci_u32_e64 v23, s1, v28, v24, s1
	v_ashrrev_i32_e32 v28, 31, v27
	v_add_co_u32 v17, s1, v17, v3
	s_delay_alu instid0(VALU_DEP_1) | instskip(NEXT) | instid1(VALU_DEP_3)
	v_add_co_ci_u32_e64 v23, s1, v23, v4, s1
	v_lshlrev_b64 v[3:4], 1, v[27:28]
	s_delay_alu instid0(VALU_DEP_3) | instskip(NEXT) | instid1(VALU_DEP_1)
	v_add_co_u32 v5, s1, v17, v5
	v_add_co_ci_u32_e64 v6, s1, v23, v6, s1
	v_mov_b32_e32 v17, 0
	s_delay_alu instid0(VALU_DEP_4) | instskip(NEXT) | instid1(VALU_DEP_1)
	v_add_co_u32 v3, s1, s48, v3
	v_add_co_ci_u32_e64 v4, s1, s49, v4, s1
	v_add_co_u32 v5, s1, v5, v21
	s_delay_alu instid0(VALU_DEP_1) | instskip(SKIP_1) | instid1(SALU_CYCLE_1)
	v_add_co_ci_u32_e64 v6, s1, v6, v22, s1
	s_and_b32 s1, s2, s5
	s_and_b32 s2, s1, vcc_lo
	s_delay_alu instid0(SALU_CYCLE_1)
	s_and_saveexec_b32 s1, s2
	s_cbranch_execz .LBB6_5
; %bb.4:                                ;   in Loop: Header=BB6_3 Depth=1
	global_load_u16 v17, v[3:4], off
	global_load_u16 v21, v[5:6], off
	s_waitcnt vmcnt(0)
	v_fma_mix_f32 v17, v17, v21, 0 op_sel_hi:[1,1,0]
.LBB6_5:                                ;   in Loop: Header=BB6_3 Depth=1
	s_or_b32 exec_lo, exec_lo, s1
	v_cmp_lt_i32_e64 s1, -2, v20
	v_add_nc_u32_e32 v21, 1, v20
	s_delay_alu instid0(VALU_DEP_2) | instskip(NEXT) | instid1(VALU_DEP_1)
	s_and_b32 s3, s4, s1
	v_cmp_gt_i32_e64 s2, s19, v21
	s_and_b32 s3, s3, s11
	s_delay_alu instid0(SALU_CYCLE_1)
	s_and_b32 s3, s3, s5
	s_delay_alu instid0(VALU_DEP_1) | instid1(SALU_CYCLE_1)
	s_and_b32 s7, s3, s2
	s_delay_alu instid0(SALU_CYCLE_1)
	s_and_saveexec_b32 s3, s7
	s_cbranch_execz .LBB6_7
; %bb.6:                                ;   in Loop: Header=BB6_3 Depth=1
	global_load_u16 v21, v[3:4], off offset:2
	global_load_u16 v22, v[5:6], off offset:2
	s_waitcnt vmcnt(0)
	v_fma_mix_f32 v17, v21, v22, v17 op_sel_hi:[1,1,0]
.LBB6_7:                                ;   in Loop: Header=BB6_3 Depth=1
	s_or_b32 exec_lo, exec_lo, s3
	v_cmp_lt_i32_e64 s3, -3, v20
	v_add_nc_u32_e32 v20, 2, v20
	s_delay_alu instid0(VALU_DEP_2) | instskip(NEXT) | instid1(VALU_DEP_1)
	s_and_b32 s7, s4, s3
	v_cmp_gt_i32_e64 s4, s19, v20
	s_and_b32 s7, s7, s11
	s_delay_alu instid0(SALU_CYCLE_1)
	s_and_b32 s7, s7, s5
	s_delay_alu instid0(VALU_DEP_1) | instid1(SALU_CYCLE_1)
	s_and_b32 s9, s7, s4
	s_delay_alu instid0(SALU_CYCLE_1)
	s_and_saveexec_b32 s7, s9
	s_cbranch_execz .LBB6_9
; %bb.8:                                ;   in Loop: Header=BB6_3 Depth=1
	global_load_u16 v20, v[3:4], off offset:4
	global_load_u16 v21, v[5:6], off offset:4
	s_waitcnt vmcnt(0)
	v_fma_mix_f32 v17, v20, v21, v17 op_sel_hi:[1,1,0]
.LBB6_9:                                ;   in Loop: Header=BB6_3 Depth=1
	s_or_b32 exec_lo, exec_lo, s7
	v_cmp_lt_i32_e64 s9, -2, v19
	v_add_nc_u32_e32 v20, 1, v19
	s_delay_alu instid0(VALU_DEP_2) | instskip(NEXT) | instid1(VALU_DEP_1)
	s_and_b32 s12, s8, s9
	v_cmp_gt_i32_e64 s7, s18, v20
	s_and_b32 s10, s12, s0
	s_delay_alu instid0(SALU_CYCLE_1) | instskip(SKIP_1) | instid1(VALU_DEP_1)
	s_and_b32 s13, s10, s11
	v_add_co_u32 v5, s10, v5, s50
	v_add_co_ci_u32_e64 v6, s10, s51, v6, s10
	s_and_b32 s10, s13, s7
	s_delay_alu instid0(SALU_CYCLE_1) | instskip(NEXT) | instid1(SALU_CYCLE_1)
	s_and_b32 s13, s10, vcc_lo
	s_and_saveexec_b32 s10, s13
	s_cbranch_execz .LBB6_11
; %bb.10:                               ;   in Loop: Header=BB6_3 Depth=1
	global_load_u16 v20, v[3:4], off offset:6
	global_load_u16 v21, v[5:6], off
	s_waitcnt vmcnt(0)
	v_fma_mix_f32 v17, v20, v21, v17 op_sel_hi:[1,1,0]
.LBB6_11:                               ;   in Loop: Header=BB6_3 Depth=1
	s_or_b32 exec_lo, exec_lo, s10
	s_and_b32 s10, s12, s1
	s_delay_alu instid0(SALU_CYCLE_1) | instskip(NEXT) | instid1(SALU_CYCLE_1)
	s_and_b32 s10, s10, s11
	s_and_b32 s10, s10, s7
	s_delay_alu instid0(SALU_CYCLE_1) | instskip(NEXT) | instid1(SALU_CYCLE_1)
	s_and_b32 s13, s10, s2
	s_and_saveexec_b32 s10, s13
	s_cbranch_execz .LBB6_13
; %bb.12:                               ;   in Loop: Header=BB6_3 Depth=1
	global_load_u16 v20, v[3:4], off offset:8
	global_load_u16 v21, v[5:6], off offset:2
	s_waitcnt vmcnt(0)
	v_fma_mix_f32 v17, v20, v21, v17 op_sel_hi:[1,1,0]
.LBB6_13:                               ;   in Loop: Header=BB6_3 Depth=1
	s_or_b32 exec_lo, exec_lo, s10
	s_and_b32 s10, s12, s3
	s_delay_alu instid0(SALU_CYCLE_1) | instskip(NEXT) | instid1(SALU_CYCLE_1)
	s_and_b32 s10, s10, s11
	s_and_b32 s10, s10, s7
	s_delay_alu instid0(SALU_CYCLE_1) | instskip(NEXT) | instid1(SALU_CYCLE_1)
	s_and_b32 s12, s10, s4
	s_and_saveexec_b32 s10, s12
	s_cbranch_execz .LBB6_15
; %bb.14:                               ;   in Loop: Header=BB6_3 Depth=1
	global_load_u16 v20, v[3:4], off offset:10
	global_load_u16 v21, v[5:6], off offset:4
	s_waitcnt vmcnt(0)
	v_fma_mix_f32 v17, v20, v21, v17 op_sel_hi:[1,1,0]
.LBB6_15:                               ;   in Loop: Header=BB6_3 Depth=1
	s_or_b32 exec_lo, exec_lo, s10
	v_cmp_lt_i32_e64 s10, -3, v19
	v_add_nc_u32_e32 v19, 2, v19
	s_delay_alu instid0(VALU_DEP_2) | instskip(NEXT) | instid1(VALU_DEP_1)
	s_and_b32 s13, s8, s10
	v_cmp_gt_i32_e64 s8, s18, v19
	s_and_b32 s12, s13, s0
	s_delay_alu instid0(SALU_CYCLE_1) | instskip(SKIP_1) | instid1(VALU_DEP_1)
	s_and_b32 s68, s12, s11
	v_add_co_u32 v5, s12, v5, s50
	v_add_co_ci_u32_e64 v6, s12, s51, v6, s12
	s_and_b32 s12, s68, s8
	s_delay_alu instid0(SALU_CYCLE_1) | instskip(NEXT) | instid1(SALU_CYCLE_1)
	s_and_b32 s68, s12, vcc_lo
	s_and_saveexec_b32 s12, s68
	s_cbranch_execz .LBB6_17
; %bb.16:                               ;   in Loop: Header=BB6_3 Depth=1
	global_load_u16 v19, v[3:4], off offset:12
	global_load_u16 v20, v[5:6], off
	s_waitcnt vmcnt(0)
	v_fma_mix_f32 v17, v19, v20, v17 op_sel_hi:[1,1,0]
.LBB6_17:                               ;   in Loop: Header=BB6_3 Depth=1
	s_or_b32 exec_lo, exec_lo, s12
	s_and_b32 s12, s13, s1
	s_delay_alu instid0(SALU_CYCLE_1) | instskip(NEXT) | instid1(SALU_CYCLE_1)
	s_and_b32 s12, s12, s11
	s_and_b32 s12, s12, s8
	s_delay_alu instid0(SALU_CYCLE_1) | instskip(NEXT) | instid1(SALU_CYCLE_1)
	s_and_b32 s68, s12, s2
	s_and_saveexec_b32 s12, s68
	s_cbranch_execz .LBB6_19
; %bb.18:                               ;   in Loop: Header=BB6_3 Depth=1
	global_load_u16 v19, v[3:4], off offset:14
	global_load_u16 v20, v[5:6], off offset:2
	s_waitcnt vmcnt(0)
	v_fma_mix_f32 v17, v19, v20, v17 op_sel_hi:[1,1,0]
.LBB6_19:                               ;   in Loop: Header=BB6_3 Depth=1
	s_or_b32 exec_lo, exec_lo, s12
	s_and_b32 s12, s13, s3
	s_delay_alu instid0(SALU_CYCLE_1) | instskip(NEXT) | instid1(SALU_CYCLE_1)
	s_and_b32 s11, s12, s11
	s_and_b32 s11, s11, s8
	s_delay_alu instid0(SALU_CYCLE_1) | instskip(NEXT) | instid1(SALU_CYCLE_1)
	s_and_b32 s12, s11, s4
	s_and_saveexec_b32 s11, s12
	s_cbranch_execz .LBB6_21
; %bb.20:                               ;   in Loop: Header=BB6_3 Depth=1
	global_load_u16 v19, v[3:4], off offset:16
	global_load_u16 v20, v[5:6], off offset:4
	s_waitcnt vmcnt(0)
	v_fma_mix_f32 v17, v19, v20, v17 op_sel_hi:[1,1,0]
.LBB6_21:                               ;   in Loop: Header=BB6_3 Depth=1
	s_or_b32 exec_lo, exec_lo, s11
	v_add_nc_u32_e32 v19, 1, v18
	v_cmp_lt_i32_e64 s12, -2, v18
	s_add_u32 s13, s52, s50
	s_addc_u32 s69, s53, s51
	v_add_co_u32 v5, s13, s13, v5
	v_cmp_gt_i32_e64 s11, s17, v19
	s_and_b32 s68, s12, s6
	v_add_co_ci_u32_e64 v6, s13, s69, v6, s13
	s_and_b32 s70, s68, s0
	s_delay_alu instid0(VALU_DEP_2) | instid1(SALU_CYCLE_1)
	s_and_b32 s70, s70, s11
	s_delay_alu instid0(SALU_CYCLE_1) | instskip(NEXT) | instid1(SALU_CYCLE_1)
	s_and_b32 s13, s70, s5
	s_and_b32 s69, s13, vcc_lo
	s_delay_alu instid0(SALU_CYCLE_1)
	s_and_saveexec_b32 s13, s69
	s_cbranch_execz .LBB6_23
; %bb.22:                               ;   in Loop: Header=BB6_3 Depth=1
	global_load_u16 v19, v[3:4], off offset:18
	global_load_u16 v20, v[5:6], off
	s_waitcnt vmcnt(0)
	v_fma_mix_f32 v17, v19, v20, v17 op_sel_hi:[1,1,0]
.LBB6_23:                               ;   in Loop: Header=BB6_3 Depth=1
	s_or_b32 exec_lo, exec_lo, s13
	s_and_b32 s13, s68, s1
	s_delay_alu instid0(SALU_CYCLE_1) | instskip(NEXT) | instid1(SALU_CYCLE_1)
	s_and_b32 s13, s13, s11
	s_and_b32 s13, s13, s5
	s_delay_alu instid0(SALU_CYCLE_1) | instskip(NEXT) | instid1(SALU_CYCLE_1)
	s_and_b32 s69, s13, s2
	s_and_saveexec_b32 s13, s69
	s_cbranch_execz .LBB6_25
; %bb.24:                               ;   in Loop: Header=BB6_3 Depth=1
	global_load_u16 v19, v[3:4], off offset:20
	global_load_u16 v20, v[5:6], off offset:2
	s_waitcnt vmcnt(0)
	v_fma_mix_f32 v17, v19, v20, v17 op_sel_hi:[1,1,0]
.LBB6_25:                               ;   in Loop: Header=BB6_3 Depth=1
	s_or_b32 exec_lo, exec_lo, s13
	s_and_b32 s13, s68, s3
	s_delay_alu instid0(SALU_CYCLE_1) | instskip(NEXT) | instid1(SALU_CYCLE_1)
	s_and_b32 s13, s13, s11
	s_and_b32 s13, s13, s5
	s_delay_alu instid0(SALU_CYCLE_1) | instskip(NEXT) | instid1(SALU_CYCLE_1)
	s_and_b32 s68, s13, s4
	s_and_saveexec_b32 s13, s68
	s_cbranch_execz .LBB6_27
; %bb.26:                               ;   in Loop: Header=BB6_3 Depth=1
	global_load_u16 v19, v[3:4], off offset:22
	global_load_u16 v20, v[5:6], off offset:4
	s_waitcnt vmcnt(0)
	v_fma_mix_f32 v17, v19, v20, v17 op_sel_hi:[1,1,0]
.LBB6_27:                               ;   in Loop: Header=BB6_3 Depth=1
	s_or_b32 exec_lo, exec_lo, s13
	s_and_b32 s68, s12, s9
	s_delay_alu instid0(SALU_CYCLE_1) | instskip(NEXT) | instid1(SALU_CYCLE_1)
	s_and_b32 s13, s68, s0
	s_and_b32 s69, s13, s11
	v_add_co_u32 v5, s13, v5, s50
	s_delay_alu instid0(VALU_DEP_1) | instskip(SKIP_1) | instid1(SALU_CYCLE_1)
	v_add_co_ci_u32_e64 v6, s13, s51, v6, s13
	s_and_b32 s13, s69, s7
	s_and_b32 s69, s13, vcc_lo
	s_delay_alu instid0(SALU_CYCLE_1)
	s_and_saveexec_b32 s13, s69
	s_cbranch_execz .LBB6_29
; %bb.28:                               ;   in Loop: Header=BB6_3 Depth=1
	global_load_u16 v19, v[3:4], off offset:24
	global_load_u16 v20, v[5:6], off
	s_waitcnt vmcnt(0)
	v_fma_mix_f32 v17, v19, v20, v17 op_sel_hi:[1,1,0]
.LBB6_29:                               ;   in Loop: Header=BB6_3 Depth=1
	s_or_b32 exec_lo, exec_lo, s13
	s_and_b32 s13, s68, s1
	s_delay_alu instid0(SALU_CYCLE_1) | instskip(NEXT) | instid1(SALU_CYCLE_1)
	s_and_b32 s13, s13, s11
	s_and_b32 s13, s13, s7
	s_delay_alu instid0(SALU_CYCLE_1) | instskip(NEXT) | instid1(SALU_CYCLE_1)
	s_and_b32 s69, s13, s2
	s_and_saveexec_b32 s13, s69
	s_cbranch_execz .LBB6_31
; %bb.30:                               ;   in Loop: Header=BB6_3 Depth=1
	global_load_u16 v19, v[3:4], off offset:26
	global_load_u16 v20, v[5:6], off offset:2
	s_waitcnt vmcnt(0)
	v_fma_mix_f32 v17, v19, v20, v17 op_sel_hi:[1,1,0]
.LBB6_31:                               ;   in Loop: Header=BB6_3 Depth=1
	s_or_b32 exec_lo, exec_lo, s13
	s_and_b32 s13, s68, s3
	s_delay_alu instid0(SALU_CYCLE_1) | instskip(NEXT) | instid1(SALU_CYCLE_1)
	s_and_b32 s13, s13, s11
	s_and_b32 s13, s13, s7
	s_delay_alu instid0(SALU_CYCLE_1) | instskip(NEXT) | instid1(SALU_CYCLE_1)
	s_and_b32 s68, s13, s4
	s_and_saveexec_b32 s13, s68
	s_cbranch_execz .LBB6_33
; %bb.32:                               ;   in Loop: Header=BB6_3 Depth=1
	global_load_u16 v19, v[3:4], off offset:28
	global_load_u16 v20, v[5:6], off offset:4
	s_waitcnt vmcnt(0)
	v_fma_mix_f32 v17, v19, v20, v17 op_sel_hi:[1,1,0]
.LBB6_33:                               ;   in Loop: Header=BB6_3 Depth=1
	s_or_b32 exec_lo, exec_lo, s13
	s_and_b32 s13, s12, s10
	s_delay_alu instid0(SALU_CYCLE_1) | instskip(NEXT) | instid1(SALU_CYCLE_1)
	s_and_b32 s12, s13, s0
	s_and_b32 s68, s12, s11
	v_add_co_u32 v5, s12, v5, s50
	s_delay_alu instid0(VALU_DEP_1) | instskip(SKIP_1) | instid1(SALU_CYCLE_1)
	v_add_co_ci_u32_e64 v6, s12, s51, v6, s12
	s_and_b32 s12, s68, s8
	s_and_b32 s68, s12, vcc_lo
	s_delay_alu instid0(SALU_CYCLE_1)
	s_and_saveexec_b32 s12, s68
	s_cbranch_execz .LBB6_35
; %bb.34:                               ;   in Loop: Header=BB6_3 Depth=1
	global_load_u16 v19, v[3:4], off offset:30
	global_load_u16 v20, v[5:6], off
	s_waitcnt vmcnt(0)
	v_fma_mix_f32 v17, v19, v20, v17 op_sel_hi:[1,1,0]
.LBB6_35:                               ;   in Loop: Header=BB6_3 Depth=1
	s_or_b32 exec_lo, exec_lo, s12
	s_and_b32 s12, s13, s1
	s_delay_alu instid0(SALU_CYCLE_1) | instskip(NEXT) | instid1(SALU_CYCLE_1)
	s_and_b32 s12, s12, s11
	s_and_b32 s12, s12, s8
	s_delay_alu instid0(SALU_CYCLE_1) | instskip(NEXT) | instid1(SALU_CYCLE_1)
	s_and_b32 s68, s12, s2
	s_and_saveexec_b32 s12, s68
	s_cbranch_execz .LBB6_37
; %bb.36:                               ;   in Loop: Header=BB6_3 Depth=1
	global_load_u16 v19, v[3:4], off offset:32
	global_load_u16 v20, v[5:6], off offset:2
	s_waitcnt vmcnt(0)
	v_fma_mix_f32 v17, v19, v20, v17 op_sel_hi:[1,1,0]
.LBB6_37:                               ;   in Loop: Header=BB6_3 Depth=1
	s_or_b32 exec_lo, exec_lo, s12
	s_and_b32 s12, s13, s3
	s_delay_alu instid0(SALU_CYCLE_1) | instskip(NEXT) | instid1(SALU_CYCLE_1)
	s_and_b32 s11, s12, s11
	s_and_b32 s11, s11, s8
	s_delay_alu instid0(SALU_CYCLE_1) | instskip(NEXT) | instid1(SALU_CYCLE_1)
	s_and_b32 s12, s11, s4
	s_and_saveexec_b32 s11, s12
	s_cbranch_execz .LBB6_39
; %bb.38:                               ;   in Loop: Header=BB6_3 Depth=1
	global_load_u16 v19, v[3:4], off offset:34
	global_load_u16 v20, v[5:6], off offset:4
	s_waitcnt vmcnt(0)
	v_fma_mix_f32 v17, v19, v20, v17 op_sel_hi:[1,1,0]
.LBB6_39:                               ;   in Loop: Header=BB6_3 Depth=1
	s_or_b32 exec_lo, exec_lo, s11
	v_add_nc_u32_e32 v19, 2, v18
	v_cmp_lt_i32_e64 s12, -3, v18
	s_add_u32 s68, s52, s50
	s_addc_u32 s69, s53, s51
	s_delay_alu instid0(VALU_DEP_2) | instskip(NEXT) | instid1(VALU_DEP_2)
	v_cmp_gt_i32_e64 s11, s17, v19
	s_and_b32 s13, s12, s6
	s_delay_alu instid0(SALU_CYCLE_1)
	s_and_b32 s6, s13, s0
	s_delay_alu instid0(VALU_DEP_1) | instid1(SALU_CYCLE_1)
	s_and_b32 s70, s6, s11
	v_add_co_u32 v5, s6, s68, v5
	s_delay_alu instid0(VALU_DEP_1) | instskip(SKIP_1) | instid1(SALU_CYCLE_1)
	v_add_co_ci_u32_e64 v6, s6, s69, v6, s6
	s_and_b32 s6, s70, s5
	s_and_b32 s68, s6, vcc_lo
	s_delay_alu instid0(SALU_CYCLE_1)
	s_and_saveexec_b32 s6, s68
	s_cbranch_execz .LBB6_41
; %bb.40:                               ;   in Loop: Header=BB6_3 Depth=1
	global_load_u16 v18, v[3:4], off offset:36
	global_load_u16 v19, v[5:6], off
	s_waitcnt vmcnt(0)
	v_fma_mix_f32 v17, v18, v19, v17 op_sel_hi:[1,1,0]
.LBB6_41:                               ;   in Loop: Header=BB6_3 Depth=1
	s_or_b32 exec_lo, exec_lo, s6
	s_and_b32 s6, s13, s1
	s_delay_alu instid0(SALU_CYCLE_1) | instskip(NEXT) | instid1(SALU_CYCLE_1)
	s_and_b32 s6, s6, s11
	s_and_b32 s6, s6, s5
	s_delay_alu instid0(SALU_CYCLE_1) | instskip(NEXT) | instid1(SALU_CYCLE_1)
	s_and_b32 s68, s6, s2
	s_and_saveexec_b32 s6, s68
	s_cbranch_execz .LBB6_43
; %bb.42:                               ;   in Loop: Header=BB6_3 Depth=1
	global_load_u16 v18, v[3:4], off offset:38
	global_load_u16 v19, v[5:6], off offset:2
	s_waitcnt vmcnt(0)
	v_fma_mix_f32 v17, v18, v19, v17 op_sel_hi:[1,1,0]
.LBB6_43:                               ;   in Loop: Header=BB6_3 Depth=1
	s_or_b32 exec_lo, exec_lo, s6
	s_and_b32 s6, s13, s3
	s_delay_alu instid0(SALU_CYCLE_1) | instskip(NEXT) | instid1(SALU_CYCLE_1)
	s_and_b32 s6, s6, s11
	s_and_b32 s5, s6, s5
	s_delay_alu instid0(SALU_CYCLE_1) | instskip(NEXT) | instid1(SALU_CYCLE_1)
	s_and_b32 s6, s5, s4
	s_and_saveexec_b32 s5, s6
	s_cbranch_execz .LBB6_45
; %bb.44:                               ;   in Loop: Header=BB6_3 Depth=1
	global_load_u16 v18, v[3:4], off offset:40
	global_load_u16 v19, v[5:6], off offset:4
	s_waitcnt vmcnt(0)
	v_fma_mix_f32 v17, v18, v19, v17 op_sel_hi:[1,1,0]
.LBB6_45:                               ;   in Loop: Header=BB6_3 Depth=1
	s_or_b32 exec_lo, exec_lo, s5
	s_and_b32 s6, s12, s9
	s_delay_alu instid0(SALU_CYCLE_1) | instskip(NEXT) | instid1(SALU_CYCLE_1)
	s_and_b32 s5, s6, s0
	s_and_b32 s9, s5, s11
	v_add_co_u32 v5, s5, v5, s50
	s_delay_alu instid0(VALU_DEP_1) | instskip(SKIP_1) | instid1(SALU_CYCLE_1)
	v_add_co_ci_u32_e64 v6, s5, s51, v6, s5
	s_and_b32 s5, s9, s7
	s_and_b32 s9, s5, vcc_lo
	s_delay_alu instid0(SALU_CYCLE_1)
	s_and_saveexec_b32 s5, s9
	s_cbranch_execz .LBB6_47
; %bb.46:                               ;   in Loop: Header=BB6_3 Depth=1
	global_load_u16 v18, v[3:4], off offset:42
	global_load_u16 v19, v[5:6], off
	s_waitcnt vmcnt(0)
	v_fma_mix_f32 v17, v18, v19, v17 op_sel_hi:[1,1,0]
.LBB6_47:                               ;   in Loop: Header=BB6_3 Depth=1
	s_or_b32 exec_lo, exec_lo, s5
	s_and_b32 s5, s6, s1
	s_delay_alu instid0(SALU_CYCLE_1) | instskip(NEXT) | instid1(SALU_CYCLE_1)
	s_and_b32 s5, s5, s11
	s_and_b32 s5, s5, s7
	s_delay_alu instid0(SALU_CYCLE_1) | instskip(NEXT) | instid1(SALU_CYCLE_1)
	s_and_b32 s9, s5, s2
	s_and_saveexec_b32 s5, s9
	s_cbranch_execz .LBB6_49
; %bb.48:                               ;   in Loop: Header=BB6_3 Depth=1
	global_load_u16 v18, v[3:4], off offset:44
	global_load_u16 v19, v[5:6], off offset:2
	s_waitcnt vmcnt(0)
	v_fma_mix_f32 v17, v18, v19, v17 op_sel_hi:[1,1,0]
.LBB6_49:                               ;   in Loop: Header=BB6_3 Depth=1
	s_or_b32 exec_lo, exec_lo, s5
	s_and_b32 s5, s6, s3
	s_delay_alu instid0(SALU_CYCLE_1) | instskip(NEXT) | instid1(SALU_CYCLE_1)
	s_and_b32 s5, s5, s11
	s_and_b32 s5, s5, s7
	s_delay_alu instid0(SALU_CYCLE_1) | instskip(NEXT) | instid1(SALU_CYCLE_1)
	s_and_b32 s6, s5, s4
	s_and_saveexec_b32 s5, s6
	s_cbranch_execz .LBB6_51
; %bb.50:                               ;   in Loop: Header=BB6_3 Depth=1
	global_load_u16 v18, v[3:4], off offset:46
	global_load_u16 v19, v[5:6], off offset:4
	s_waitcnt vmcnt(0)
	v_fma_mix_f32 v17, v18, v19, v17 op_sel_hi:[1,1,0]
.LBB6_51:                               ;   in Loop: Header=BB6_3 Depth=1
	s_or_b32 exec_lo, exec_lo, s5
	s_and_b32 s5, s12, s10
	s_delay_alu instid0(SALU_CYCLE_1) | instskip(NEXT) | instid1(SALU_CYCLE_1)
	s_and_b32 s0, s5, s0
	s_and_b32 s6, s0, s11
	v_add_co_u32 v5, s0, v5, s50
	s_delay_alu instid0(VALU_DEP_1) | instskip(SKIP_1) | instid1(SALU_CYCLE_1)
	v_add_co_ci_u32_e64 v6, s0, s51, v6, s0
	s_and_b32 s0, s6, s8
	s_and_b32 s6, s0, vcc_lo
	s_delay_alu instid0(SALU_CYCLE_1)
	s_and_saveexec_b32 s0, s6
	s_cbranch_execz .LBB6_53
; %bb.52:                               ;   in Loop: Header=BB6_3 Depth=1
	global_load_u16 v18, v[3:4], off offset:48
	global_load_u16 v19, v[5:6], off
	s_waitcnt vmcnt(0)
	v_fma_mix_f32 v17, v18, v19, v17 op_sel_hi:[1,1,0]
.LBB6_53:                               ;   in Loop: Header=BB6_3 Depth=1
	s_or_b32 exec_lo, exec_lo, s0
	s_and_b32 s0, s5, s1
	s_delay_alu instid0(SALU_CYCLE_1) | instskip(NEXT) | instid1(SALU_CYCLE_1)
	s_and_b32 s0, s0, s11
	s_and_b32 s0, s0, s8
	s_delay_alu instid0(SALU_CYCLE_1) | instskip(NEXT) | instid1(SALU_CYCLE_1)
	s_and_b32 s1, s0, s2
	s_and_saveexec_b32 s0, s1
	s_cbranch_execz .LBB6_55
; %bb.54:                               ;   in Loop: Header=BB6_3 Depth=1
	global_load_u16 v18, v[3:4], off offset:50
	global_load_u16 v19, v[5:6], off offset:2
	s_waitcnt vmcnt(0)
	v_fma_mix_f32 v17, v18, v19, v17 op_sel_hi:[1,1,0]
.LBB6_55:                               ;   in Loop: Header=BB6_3 Depth=1
	s_or_b32 exec_lo, exec_lo, s0
	s_and_b32 s0, s5, s3
	s_delay_alu instid0(SALU_CYCLE_1) | instskip(NEXT) | instid1(SALU_CYCLE_1)
	s_and_b32 s0, s0, s11
	s_and_b32 s0, s0, s8
	s_delay_alu instid0(SALU_CYCLE_1) | instskip(NEXT) | instid1(SALU_CYCLE_1)
	s_and_b32 s1, s0, s4
	s_and_saveexec_b32 s0, s1
	s_cbranch_execz .LBB6_57
; %bb.56:                               ;   in Loop: Header=BB6_3 Depth=1
	global_load_u16 v3, v[3:4], off offset:52
	global_load_u16 v4, v[5:6], off offset:4
	s_waitcnt vmcnt(0)
	v_fma_mix_f32 v17, v3, v4, v17 op_sel_hi:[1,1,0]
.LBB6_57:                               ;   in Loop: Header=BB6_3 Depth=1
	s_or_b32 exec_lo, exec_lo, s0
	s_delay_alu instid0(SALU_CYCLE_1)
	s_and_not1_b32 vcc_lo, exec_lo, s56
	s_cbranch_vccnz .LBB6_2
; %bb.58:                               ;   in Loop: Header=BB6_3 Depth=1
	v_lshlrev_b64 v[2:3], 1, v[1:2]
	s_delay_alu instid0(VALU_DEP_1) | instskip(NEXT) | instid1(VALU_DEP_2)
	v_add_co_u32 v2, vcc_lo, s40, v2
	v_add_co_ci_u32_e32 v3, vcc_lo, s41, v3, vcc_lo
	global_load_u16 v2, v[2:3], off
	s_waitcnt vmcnt(0)
	v_cvt_f32_f16_e32 v2, v2
	s_delay_alu instid0(VALU_DEP_1)
	v_add_f32_e32 v17, v17, v2
	s_branch .LBB6_2
.LBB6_59:
	s_nop 0
	s_sendmsg sendmsg(MSG_DEALLOC_VGPRS)
	s_endpgm
	.section	.rodata,"a",@progbits
	.p2align	6, 0x0
	.amdhsa_kernel _ZN2at6native12_GLOBAL__N_128conv_depthwise3d_cuda_kernelIN3c104HalfEfLi3ELi3ELi3ELi1ELi1ELi1EEEvN5torch10headeronly6detail27GenericPackedTensorAccessorINS7_14TensorAccessorINS3_8ArrayRefIlEEKT_Lm4ENS6_16DefaultPtrTraitsEiEENS_6detail16IndexBoundsCheckILm5EiEESD_Lm5ESE_iEENS8_INS9_ISB_SC_Lm4ESE_iEESI_SC_Lm5ESE_iEESJ_PSD_iiiiiiiii
		.amdhsa_group_segment_fixed_size 0
		.amdhsa_private_segment_fixed_size 0
		.amdhsa_kernarg_size 448
		.amdhsa_user_sgpr_count 15
		.amdhsa_user_sgpr_dispatch_ptr 0
		.amdhsa_user_sgpr_queue_ptr 0
		.amdhsa_user_sgpr_kernarg_segment_ptr 1
		.amdhsa_user_sgpr_dispatch_id 0
		.amdhsa_user_sgpr_private_segment_size 0
		.amdhsa_wavefront_size32 1
		.amdhsa_uses_dynamic_stack 0
		.amdhsa_enable_private_segment 0
		.amdhsa_system_sgpr_workgroup_id_x 1
		.amdhsa_system_sgpr_workgroup_id_y 0
		.amdhsa_system_sgpr_workgroup_id_z 0
		.amdhsa_system_sgpr_workgroup_info 0
		.amdhsa_system_vgpr_workitem_id 0
		.amdhsa_next_free_vgpr 29
		.amdhsa_next_free_sgpr 71
		.amdhsa_reserve_vcc 1
		.amdhsa_float_round_mode_32 0
		.amdhsa_float_round_mode_16_64 0
		.amdhsa_float_denorm_mode_32 3
		.amdhsa_float_denorm_mode_16_64 3
		.amdhsa_dx10_clamp 1
		.amdhsa_ieee_mode 1
		.amdhsa_fp16_overflow 0
		.amdhsa_workgroup_processor_mode 1
		.amdhsa_memory_ordered 1
		.amdhsa_forward_progress 0
		.amdhsa_shared_vgpr_count 0
		.amdhsa_exception_fp_ieee_invalid_op 0
		.amdhsa_exception_fp_denorm_src 0
		.amdhsa_exception_fp_ieee_div_zero 0
		.amdhsa_exception_fp_ieee_overflow 0
		.amdhsa_exception_fp_ieee_underflow 0
		.amdhsa_exception_fp_ieee_inexact 0
		.amdhsa_exception_int_div_zero 0
	.end_amdhsa_kernel
	.section	.text._ZN2at6native12_GLOBAL__N_128conv_depthwise3d_cuda_kernelIN3c104HalfEfLi3ELi3ELi3ELi1ELi1ELi1EEEvN5torch10headeronly6detail27GenericPackedTensorAccessorINS7_14TensorAccessorINS3_8ArrayRefIlEEKT_Lm4ENS6_16DefaultPtrTraitsEiEENS_6detail16IndexBoundsCheckILm5EiEESD_Lm5ESE_iEENS8_INS9_ISB_SC_Lm4ESE_iEESI_SC_Lm5ESE_iEESJ_PSD_iiiiiiiii,"axG",@progbits,_ZN2at6native12_GLOBAL__N_128conv_depthwise3d_cuda_kernelIN3c104HalfEfLi3ELi3ELi3ELi1ELi1ELi1EEEvN5torch10headeronly6detail27GenericPackedTensorAccessorINS7_14TensorAccessorINS3_8ArrayRefIlEEKT_Lm4ENS6_16DefaultPtrTraitsEiEENS_6detail16IndexBoundsCheckILm5EiEESD_Lm5ESE_iEENS8_INS9_ISB_SC_Lm4ESE_iEESI_SC_Lm5ESE_iEESJ_PSD_iiiiiiiii,comdat
.Lfunc_end6:
	.size	_ZN2at6native12_GLOBAL__N_128conv_depthwise3d_cuda_kernelIN3c104HalfEfLi3ELi3ELi3ELi1ELi1ELi1EEEvN5torch10headeronly6detail27GenericPackedTensorAccessorINS7_14TensorAccessorINS3_8ArrayRefIlEEKT_Lm4ENS6_16DefaultPtrTraitsEiEENS_6detail16IndexBoundsCheckILm5EiEESD_Lm5ESE_iEENS8_INS9_ISB_SC_Lm4ESE_iEESI_SC_Lm5ESE_iEESJ_PSD_iiiiiiiii, .Lfunc_end6-_ZN2at6native12_GLOBAL__N_128conv_depthwise3d_cuda_kernelIN3c104HalfEfLi3ELi3ELi3ELi1ELi1ELi1EEEvN5torch10headeronly6detail27GenericPackedTensorAccessorINS7_14TensorAccessorINS3_8ArrayRefIlEEKT_Lm4ENS6_16DefaultPtrTraitsEiEENS_6detail16IndexBoundsCheckILm5EiEESD_Lm5ESE_iEENS8_INS9_ISB_SC_Lm4ESE_iEESI_SC_Lm5ESE_iEESJ_PSD_iiiiiiiii
                                        ; -- End function
	.section	.AMDGPU.csdata,"",@progbits
; Kernel info:
; codeLenInByte = 3952
; NumSgprs: 73
; NumVgprs: 29
; ScratchSize: 0
; MemoryBound: 0
; FloatMode: 240
; IeeeMode: 1
; LDSByteSize: 0 bytes/workgroup (compile time only)
; SGPRBlocks: 9
; VGPRBlocks: 3
; NumSGPRsForWavesPerEU: 73
; NumVGPRsForWavesPerEU: 29
; Occupancy: 16
; WaveLimiterHint : 0
; COMPUTE_PGM_RSRC2:SCRATCH_EN: 0
; COMPUTE_PGM_RSRC2:USER_SGPR: 15
; COMPUTE_PGM_RSRC2:TRAP_HANDLER: 0
; COMPUTE_PGM_RSRC2:TGID_X_EN: 1
; COMPUTE_PGM_RSRC2:TGID_Y_EN: 0
; COMPUTE_PGM_RSRC2:TGID_Z_EN: 0
; COMPUTE_PGM_RSRC2:TIDIG_COMP_CNT: 0
	.section	.text._ZN2at6native12_GLOBAL__N_128conv_depthwise3d_cuda_kernelIN3c104HalfEfLin1ELin1ELin1ELi1ELi1ELi1EEEvN5torch10headeronly6detail27GenericPackedTensorAccessorINS7_14TensorAccessorINS3_8ArrayRefIlEEKT_Lm4ENS6_16DefaultPtrTraitsEiEENS_6detail16IndexBoundsCheckILm5EiEESD_Lm5ESE_iEENS8_INS9_ISB_SC_Lm4ESE_iEESI_SC_Lm5ESE_iEESJ_PSD_iiiiiiiii,"axG",@progbits,_ZN2at6native12_GLOBAL__N_128conv_depthwise3d_cuda_kernelIN3c104HalfEfLin1ELin1ELin1ELi1ELi1ELi1EEEvN5torch10headeronly6detail27GenericPackedTensorAccessorINS7_14TensorAccessorINS3_8ArrayRefIlEEKT_Lm4ENS6_16DefaultPtrTraitsEiEENS_6detail16IndexBoundsCheckILm5EiEESD_Lm5ESE_iEENS8_INS9_ISB_SC_Lm4ESE_iEESI_SC_Lm5ESE_iEESJ_PSD_iiiiiiiii,comdat
	.globl	_ZN2at6native12_GLOBAL__N_128conv_depthwise3d_cuda_kernelIN3c104HalfEfLin1ELin1ELin1ELi1ELi1ELi1EEEvN5torch10headeronly6detail27GenericPackedTensorAccessorINS7_14TensorAccessorINS3_8ArrayRefIlEEKT_Lm4ENS6_16DefaultPtrTraitsEiEENS_6detail16IndexBoundsCheckILm5EiEESD_Lm5ESE_iEENS8_INS9_ISB_SC_Lm4ESE_iEESI_SC_Lm5ESE_iEESJ_PSD_iiiiiiiii ; -- Begin function _ZN2at6native12_GLOBAL__N_128conv_depthwise3d_cuda_kernelIN3c104HalfEfLin1ELin1ELin1ELi1ELi1ELi1EEEvN5torch10headeronly6detail27GenericPackedTensorAccessorINS7_14TensorAccessorINS3_8ArrayRefIlEEKT_Lm4ENS6_16DefaultPtrTraitsEiEENS_6detail16IndexBoundsCheckILm5EiEESD_Lm5ESE_iEENS8_INS9_ISB_SC_Lm4ESE_iEESI_SC_Lm5ESE_iEESJ_PSD_iiiiiiiii
	.p2align	8
	.type	_ZN2at6native12_GLOBAL__N_128conv_depthwise3d_cuda_kernelIN3c104HalfEfLin1ELin1ELin1ELi1ELi1ELi1EEEvN5torch10headeronly6detail27GenericPackedTensorAccessorINS7_14TensorAccessorINS3_8ArrayRefIlEEKT_Lm4ENS6_16DefaultPtrTraitsEiEENS_6detail16IndexBoundsCheckILm5EiEESD_Lm5ESE_iEENS8_INS9_ISB_SC_Lm4ESE_iEESI_SC_Lm5ESE_iEESJ_PSD_iiiiiiiii,@function
_ZN2at6native12_GLOBAL__N_128conv_depthwise3d_cuda_kernelIN3c104HalfEfLin1ELin1ELin1ELi1ELi1ELi1EEEvN5torch10headeronly6detail27GenericPackedTensorAccessorINS7_14TensorAccessorINS3_8ArrayRefIlEEKT_Lm4ENS6_16DefaultPtrTraitsEiEENS_6detail16IndexBoundsCheckILm5EiEESD_Lm5ESE_iEENS8_INS9_ISB_SC_Lm4ESE_iEESI_SC_Lm5ESE_iEESJ_PSD_iiiiiiiii: ; @_ZN2at6native12_GLOBAL__N_128conv_depthwise3d_cuda_kernelIN3c104HalfEfLin1ELin1ELin1ELi1ELi1ELi1EEEvN5torch10headeronly6detail27GenericPackedTensorAccessorINS7_14TensorAccessorINS3_8ArrayRefIlEEKT_Lm4ENS6_16DefaultPtrTraitsEiEENS_6detail16IndexBoundsCheckILm5EiEESD_Lm5ESE_iEENS8_INS9_ISB_SC_Lm4ESE_iEESI_SC_Lm5ESE_iEESJ_PSD_iiiiiiiii
; %bb.0:
	s_clause 0x3
	s_load_b128 s[4:7], s[0:1], 0xc
	s_load_b32 s12, s[0:1], 0xcc
	s_load_b128 s[8:11], s[0:1], 0x38
	s_load_b64 s[28:29], s[0:1], 0x48
	s_waitcnt lgkmcnt(0)
	s_abs_i32 s16, s4
	s_add_u32 s2, s0, 0xc0
	v_cvt_f32_u32_e32 v1, s16
	s_addc_u32 s3, s1, 0
	s_and_b32 s56, s12, 0xffff
	s_mul_i32 s30, s29, s8
	s_mov_b32 s8, exec_lo
	v_rcp_iflag_f32_e32 v2, v1
	v_mov_b32_e32 v1, 0
	s_ashr_i32 s31, s30, 31
	s_waitcnt_depctr 0xfff
	v_mul_f32_e32 v4, 0x4f7ffffe, v2
	v_mad_u64_u32 v[2:3], null, s56, s15, v[0:1]
	s_delay_alu instid0(VALU_DEP_2) | instskip(NEXT) | instid1(VALU_DEP_1)
	v_cvt_u32_f32_e32 v0, v4
	v_readfirstlane_b32 s12, v0
	s_delay_alu instid0(VALU_DEP_3)
	v_cmpx_gt_i64_e64 s[30:31], v[2:3]
	s_cbranch_execz .LBB7_17
; %bb.1:
	s_sub_i32 s8, 0, s16
	s_abs_i32 s33, s9
	s_mul_i32 s13, s8, s12
	s_ashr_i32 s8, s9, 31
	s_mul_hi_u32 s13, s12, s13
	s_ashr_i32 s4, s4, 31
	s_add_i32 s17, s12, s13
	s_clause 0x1
	s_load_b128 s[12:15], s[0:1], 0x70
	s_load_b64 s[34:35], s[0:1], 0x90
	s_waitcnt lgkmcnt(0)
	s_mul_hi_u32 s15, s33, s17
	s_xor_b32 s18, s8, s4
	s_mul_i32 s17, s15, s16
	v_cvt_f32_u32_e32 v0, s33
	s_sub_i32 s4, s33, s17
	s_add_i32 s17, s15, 1
	s_sub_i32 s19, s4, s16
	s_cmp_ge_u32 s4, s16
	v_rcp_iflag_f32_e32 v0, v0
	s_cselect_b32 s15, s17, s15
	s_cselect_b32 s4, s19, s4
	s_add_i32 s17, s15, 1
	s_cmp_ge_u32 s4, s16
	s_load_b32 s2, s[2:3], 0x0
	s_cselect_b32 s4, s17, s15
	s_load_b64 s[36:37], s[0:1], 0xa8
	s_xor_b32 s15, s4, s18
	s_load_b32 s4, s[0:1], 0x7c
	s_sub_i32 s60, s15, s18
	s_load_b128 s[16:19], s[0:1], 0x98
	s_cmp_gt_i32 s12, 0
	s_mov_b32 s48, 0
	s_cselect_b32 s15, -1, 0
	s_cmp_gt_i32 s13, 0
	s_cselect_b32 s49, -1, 0
	s_cmp_gt_i32 s14, 0
	s_cselect_b32 s50, -1, 0
	s_sub_i32 s20, s6, s13
	s_sub_i32 s44, s7, s14
	s_mul_i32 s46, s7, s20
	s_ashr_i32 s45, s44, 31
	s_ashr_i32 s47, s46, 31
	s_cmp_lg_u64 s[34:35], 0
	s_clause 0x1
	s_load_b64 s[38:39], s[0:1], 0x0
	s_load_b128 s[20:23], s[0:1], 0x1c
	s_cselect_b32 s51, -1, 0
	s_abs_i32 s52, s28
	s_abs_i32 s53, s11
	v_cvt_f32_u32_e32 v1, s52
	v_cvt_f32_u32_e32 v4, s53
	s_abs_i32 s54, s10
	s_abs_i32 s55, s60
	v_cvt_f32_u32_e32 v5, s54
	v_rcp_iflag_f32_e32 v1, v1
	v_rcp_iflag_f32_e32 v4, v4
	v_cvt_f32_u32_e32 v6, s55
	s_sub_i32 s25, 0, s53
	v_rcp_iflag_f32_e32 v5, v5
	v_mul_f32_e32 v0, 0x4f7ffffe, v0
	s_sub_i32 s24, 0, s52
	v_rcp_iflag_f32_e32 v6, v6
	s_clause 0x1
	s_load_b32 s3, s[0:1], 0x2c
	s_load_b64 s[40:41], s[0:1], 0x30
	s_waitcnt lgkmcnt(0)
	s_mul_i32 s56, s2, s56
	v_dual_mul_f32 v1, 0x4f7ffffe, v1 :: v_dual_mul_f32 v4, 0x4f7ffffe, v4
	s_ashr_i32 s57, s28, 31
	s_ashr_i32 s58, s11, 31
	s_waitcnt_depctr 0xfff
	v_mul_f32_e32 v5, 0x4f7ffffe, v5
	v_cvt_u32_f32_e32 v1, v1
	v_cvt_u32_f32_e32 v4, v4
	;; [unrolled: 1-line block ×3, first 2 shown]
	s_ashr_i32 s59, s10, 31
	v_cvt_u32_f32_e32 v5, v5
	v_mul_lo_u32 v7, s24, v1
	v_mul_lo_u32 v8, s25, v4
	s_sub_i32 s24, 0, s54
	s_sub_i32 s25, 0, s55
	v_mul_lo_u32 v9, s24, v5
	s_sub_i32 s24, 0, s33
	s_ashr_i32 s60, s60, 31
	v_mul_lo_u32 v10, s24, v0
	v_mul_hi_u32 v7, v1, v7
	v_mul_hi_u32 v12, v4, v8
	v_mul_f32_e32 v6, 0x4f7ffffe, v6
	s_lshl_b64 s[44:45], s[44:45], 1
	v_mul_hi_u32 v13, v5, v9
	s_lshl_b64 s[46:47], s[46:47], 1
	v_mul_hi_u32 v14, v0, v10
	v_add_nc_u32_e32 v8, v1, v7
	v_add_nc_u32_e32 v9, v4, v12
	v_cvt_u32_f32_e32 v6, v6
	v_add_nc_u32_e32 v10, v5, v13
	s_delay_alu instid0(VALU_DEP_2) | instskip(SKIP_3) | instid1(VALU_DEP_1)
	v_mul_lo_u32 v11, s25, v6
	s_clause 0x1
	s_load_b64 s[42:43], s[0:1], 0x60
	s_load_b128 s[24:27], s[0:1], 0x50
	v_mul_hi_u32 v15, v6, v11
	v_add_nc_u32_e32 v11, v0, v14
	s_delay_alu instid0(VALU_DEP_2)
	v_add_nc_u32_e32 v12, v6, v15
	s_branch .LBB7_3
.LBB7_2:                                ;   in Loop: Header=BB7_3 Depth=1
	v_mul_lo_u32 v4, v16, s29
	s_waitcnt lgkmcnt(0)
	v_mul_lo_u32 v0, s24, v0
	v_mul_lo_u32 v6, s25, v15
	;; [unrolled: 1-line block ×3, first 2 shown]
	v_add_co_u32 v2, vcc_lo, v2, s56
	v_add_co_ci_u32_e32 v3, vcc_lo, 0, v3, vcc_lo
	v_ashrrev_i32_e32 v5, 31, v4
	v_ashrrev_i32_e32 v1, 31, v0
	;; [unrolled: 1-line block ×3, first 2 shown]
	v_mul_lo_u32 v16, s27, v13
	v_cvt_f16_f32_e32 v18, v19
	v_lshlrev_b64 v[4:5], 1, v[4:5]
	v_lshlrev_b64 v[0:1], 1, v[0:1]
	v_ashrrev_i32_e32 v15, 31, v14
	v_ashrrev_i32_e32 v17, 31, v16
	s_delay_alu instid0(VALU_DEP_4) | instskip(SKIP_2) | instid1(VALU_DEP_3)
	v_add_co_u32 v13, vcc_lo, s40, v4
	v_add_co_ci_u32_e32 v19, vcc_lo, s41, v5, vcc_lo
	v_lshlrev_b64 v[4:5], 1, v[6:7]
	v_add_co_u32 v6, vcc_lo, v13, v0
	s_delay_alu instid0(VALU_DEP_3) | instskip(SKIP_1) | instid1(VALU_DEP_3)
	v_add_co_ci_u32_e32 v7, vcc_lo, v19, v1, vcc_lo
	v_lshlrev_b64 v[0:1], 1, v[14:15]
	v_add_co_u32 v6, vcc_lo, v6, v4
	s_delay_alu instid0(VALU_DEP_3) | instskip(SKIP_1) | instid1(VALU_DEP_3)
	;; [unrolled: 4-line block ×3, first 2 shown]
	v_add_co_ci_u32_e32 v1, vcc_lo, v7, v1, vcc_lo
	v_cmp_le_i64_e32 vcc_lo, s[30:31], v[2:3]
	v_add_co_u32 v0, s0, v0, v4
	s_delay_alu instid0(VALU_DEP_1)
	v_add_co_ci_u32_e64 v1, s0, v1, v5, s0
	s_or_b32 s48, vcc_lo, s48
	global_store_b16 v[0:1], v18, off
	s_and_not1_b32 exec_lo, exec_lo, s48
	s_cbranch_execz .LBB7_17
.LBB7_3:                                ; =>This Loop Header: Depth=1
                                        ;     Child Loop BB7_6 Depth 2
                                        ;       Child Loop BB7_9 Depth 3
                                        ;         Child Loop BB7_12 Depth 4
	v_sub_nc_u32_e32 v0, 0, v2
	s_delay_alu instid0(VALU_DEP_1) | instskip(NEXT) | instid1(VALU_DEP_1)
	v_max_i32_e32 v0, v2, v0
	v_mul_hi_u32 v1, v0, v8
	s_delay_alu instid0(VALU_DEP_1) | instskip(NEXT) | instid1(VALU_DEP_1)
	v_mul_lo_u32 v4, v1, s52
	v_sub_nc_u32_e32 v0, v0, v4
	v_add_nc_u32_e32 v4, 1, v1
	s_delay_alu instid0(VALU_DEP_2) | instskip(SKIP_1) | instid1(VALU_DEP_2)
	v_subrev_nc_u32_e32 v5, s52, v0
	v_cmp_le_u32_e32 vcc_lo, s52, v0
	v_dual_cndmask_b32 v1, v1, v4 :: v_dual_cndmask_b32 v0, v0, v5
	v_ashrrev_i32_e32 v4, 31, v2
	s_delay_alu instid0(VALU_DEP_2) | instskip(NEXT) | instid1(VALU_DEP_3)
	v_add_nc_u32_e32 v5, 1, v1
	v_cmp_le_u32_e32 vcc_lo, s52, v0
	s_delay_alu instid0(VALU_DEP_3) | instskip(NEXT) | instid1(VALU_DEP_3)
	v_xor_b32_e32 v4, s57, v4
	v_cndmask_b32_e32 v0, v1, v5, vcc_lo
	s_delay_alu instid0(VALU_DEP_1) | instskip(NEXT) | instid1(VALU_DEP_1)
	v_xor_b32_e32 v0, v0, v4
	v_sub_nc_u32_e32 v1, v0, v4
	s_delay_alu instid0(VALU_DEP_1) | instskip(NEXT) | instid1(VALU_DEP_1)
	v_sub_nc_u32_e32 v0, 0, v1
	v_max_i32_e32 v0, v1, v0
	s_delay_alu instid0(VALU_DEP_1) | instskip(NEXT) | instid1(VALU_DEP_1)
	v_mul_hi_u32 v4, v0, v9
	v_mul_lo_u32 v5, v4, s53
	s_delay_alu instid0(VALU_DEP_1) | instskip(SKIP_1) | instid1(VALU_DEP_2)
	v_sub_nc_u32_e32 v0, v0, v5
	v_add_nc_u32_e32 v5, 1, v4
	v_subrev_nc_u32_e32 v6, s53, v0
	v_cmp_le_u32_e32 vcc_lo, s53, v0
	s_delay_alu instid0(VALU_DEP_3) | instskip(NEXT) | instid1(VALU_DEP_3)
	v_cndmask_b32_e32 v4, v4, v5, vcc_lo
	v_cndmask_b32_e32 v0, v0, v6, vcc_lo
	v_ashrrev_i32_e32 v5, 31, v1
	s_delay_alu instid0(VALU_DEP_3) | instskip(NEXT) | instid1(VALU_DEP_3)
	v_add_nc_u32_e32 v6, 1, v4
	v_cmp_le_u32_e32 vcc_lo, s53, v0
	s_delay_alu instid0(VALU_DEP_3) | instskip(NEXT) | instid1(VALU_DEP_3)
	v_xor_b32_e32 v5, s58, v5
	v_cndmask_b32_e32 v0, v4, v6, vcc_lo
	s_delay_alu instid0(VALU_DEP_1) | instskip(NEXT) | instid1(VALU_DEP_1)
	v_xor_b32_e32 v0, v0, v5
	v_sub_nc_u32_e32 v4, v0, v5
	s_delay_alu instid0(VALU_DEP_1) | instskip(NEXT) | instid1(VALU_DEP_1)
	v_sub_nc_u32_e32 v0, 0, v4
	v_max_i32_e32 v0, v4, v0
	s_delay_alu instid0(VALU_DEP_1) | instskip(NEXT) | instid1(VALU_DEP_1)
	v_mul_hi_u32 v5, v0, v10
	v_mul_lo_u32 v6, v5, s54
	s_delay_alu instid0(VALU_DEP_1) | instskip(SKIP_1) | instid1(VALU_DEP_2)
	v_sub_nc_u32_e32 v0, v0, v6
	v_add_nc_u32_e32 v6, 1, v5
	v_subrev_nc_u32_e32 v7, s54, v0
	v_cmp_le_u32_e32 vcc_lo, s54, v0
	s_delay_alu instid0(VALU_DEP_2) | instskip(SKIP_1) | instid1(VALU_DEP_2)
	v_dual_cndmask_b32 v5, v5, v6 :: v_dual_cndmask_b32 v0, v0, v7
	v_ashrrev_i32_e32 v6, 31, v4
	v_add_nc_u32_e32 v7, 1, v5
	s_delay_alu instid0(VALU_DEP_3) | instskip(NEXT) | instid1(VALU_DEP_3)
	v_cmp_le_u32_e32 vcc_lo, s54, v0
	v_xor_b32_e32 v6, s59, v6
	s_delay_alu instid0(VALU_DEP_3) | instskip(NEXT) | instid1(VALU_DEP_1)
	v_cndmask_b32_e32 v0, v5, v7, vcc_lo
	v_xor_b32_e32 v0, v0, v6
	s_delay_alu instid0(VALU_DEP_1) | instskip(NEXT) | instid1(VALU_DEP_1)
	v_sub_nc_u32_e32 v0, v0, v6
	v_sub_nc_u32_e32 v5, 0, v0
	v_mul_lo_u32 v15, v0, s10
	s_delay_alu instid0(VALU_DEP_2) | instskip(NEXT) | instid1(VALU_DEP_2)
	v_max_i32_e32 v5, v0, v5
	v_sub_nc_u32_e32 v15, v4, v15
	s_delay_alu instid0(VALU_DEP_2) | instskip(NEXT) | instid1(VALU_DEP_1)
	v_mul_hi_u32 v6, v5, v11
	v_mul_lo_u32 v7, v6, s33
	s_delay_alu instid0(VALU_DEP_1) | instskip(SKIP_1) | instid1(VALU_DEP_2)
	v_sub_nc_u32_e32 v5, v5, v7
	v_add_nc_u32_e32 v7, 1, v6
	v_subrev_nc_u32_e32 v13, s33, v5
	v_cmp_le_u32_e32 vcc_lo, s33, v5
	s_delay_alu instid0(VALU_DEP_2) | instskip(SKIP_1) | instid1(VALU_DEP_2)
	v_dual_cndmask_b32 v6, v6, v7 :: v_dual_cndmask_b32 v5, v5, v13
	v_ashrrev_i32_e32 v7, 31, v0
	v_add_nc_u32_e32 v13, 1, v6
	s_delay_alu instid0(VALU_DEP_3) | instskip(NEXT) | instid1(VALU_DEP_3)
	v_cmp_le_u32_e32 vcc_lo, s33, v5
	v_xor_b32_e32 v7, s8, v7
	s_delay_alu instid0(VALU_DEP_3) | instskip(SKIP_2) | instid1(VALU_DEP_2)
	v_cndmask_b32_e32 v5, v6, v13, vcc_lo
	v_mul_lo_u32 v6, v1, s28
	s_and_not1_b32 vcc_lo, exec_lo, s15
	v_xor_b32_e32 v5, v5, v7
	s_delay_alu instid0(VALU_DEP_2) | instskip(NEXT) | instid1(VALU_DEP_2)
	v_sub_nc_u32_e32 v13, v2, v6
	v_sub_nc_u32_e32 v16, v5, v7
	v_mul_lo_u32 v7, v4, s11
	s_delay_alu instid0(VALU_DEP_2) | instskip(NEXT) | instid1(VALU_DEP_2)
	v_mul_lo_u32 v5, v16, s9
	v_sub_nc_u32_e32 v14, v1, v7
	s_delay_alu instid0(VALU_DEP_2) | instskip(NEXT) | instid1(VALU_DEP_1)
	v_sub_nc_u32_e32 v0, v0, v5
	v_ashrrev_i32_e32 v1, 31, v0
	s_cbranch_vccnz .LBB7_14
; %bb.4:                                ;   in Loop: Header=BB7_3 Depth=1
	v_sub_nc_u32_e32 v4, 0, v0
	v_mul_lo_u32 v17, v15, s16
	v_mul_lo_u32 v18, v14, s17
	s_mov_b32 s61, 0
	s_delay_alu instid0(VALU_DEP_3) | instskip(NEXT) | instid1(VALU_DEP_3)
	v_max_i32_e32 v4, v0, v4
	v_subrev_nc_u32_e32 v17, s19, v17
	s_delay_alu instid0(VALU_DEP_2) | instskip(NEXT) | instid1(VALU_DEP_4)
	v_mul_hi_u32 v5, v4, v12
	v_subrev_nc_u32_e32 v18, s36, v18
	s_delay_alu instid0(VALU_DEP_3) | instskip(NEXT) | instid1(VALU_DEP_2)
	v_mul_lo_u32 v23, s22, v17
	v_mul_lo_u32 v25, s23, v18
	s_delay_alu instid0(VALU_DEP_4) | instskip(NEXT) | instid1(VALU_DEP_3)
	v_mul_lo_u32 v6, v5, s55
	v_ashrrev_i32_e32 v24, 31, v23
	s_delay_alu instid0(VALU_DEP_3) | instskip(NEXT) | instid1(VALU_DEP_3)
	v_ashrrev_i32_e32 v26, 31, v25
	v_sub_nc_u32_e32 v4, v4, v6
	v_add_nc_u32_e32 v6, 1, v5
	s_delay_alu instid0(VALU_DEP_2) | instskip(SKIP_1) | instid1(VALU_DEP_2)
	v_subrev_nc_u32_e32 v7, s55, v4
	v_cmp_le_u32_e32 vcc_lo, s55, v4
	v_dual_cndmask_b32 v5, v5, v6 :: v_dual_cndmask_b32 v4, v4, v7
	v_xor_b32_e32 v7, s60, v1
	s_delay_alu instid0(VALU_DEP_2) | instskip(NEXT) | instid1(VALU_DEP_3)
	v_add_nc_u32_e32 v6, 1, v5
	v_cmp_le_u32_e32 vcc_lo, s55, v4
	s_delay_alu instid0(VALU_DEP_2) | instskip(SKIP_1) | instid1(VALU_DEP_2)
	v_cndmask_b32_e32 v4, v5, v6, vcc_lo
	v_mul_lo_u32 v6, s4, v0
	v_xor_b32_e32 v5, v4, v7
	v_mul_lo_u32 v4, s20, v16
	s_delay_alu instid0(VALU_DEP_2) | instskip(SKIP_1) | instid1(VALU_DEP_2)
	v_sub_nc_u32_e32 v5, v5, v7
	v_mul_lo_u32 v7, v13, s18
	v_mul_lo_u32 v21, s21, v5
	s_delay_alu instid0(VALU_DEP_4) | instskip(NEXT) | instid1(VALU_DEP_3)
	v_ashrrev_i32_e32 v5, 31, v4
	v_subrev_nc_u32_e32 v20, s37, v7
	v_ashrrev_i32_e32 v7, 31, v6
	s_delay_alu instid0(VALU_DEP_3) | instskip(SKIP_1) | instid1(VALU_DEP_4)
	v_lshlrev_b64 v[4:5], 1, v[4:5]
	v_ashrrev_i32_e32 v22, 31, v21
	v_mul_lo_u32 v27, s3, v20
	s_delay_alu instid0(VALU_DEP_4) | instskip(NEXT) | instid1(VALU_DEP_4)
	v_lshlrev_b64 v[6:7], 1, v[6:7]
	v_add_co_u32 v19, vcc_lo, s38, v4
	s_delay_alu instid0(VALU_DEP_4) | instskip(SKIP_3) | instid1(VALU_DEP_4)
	v_lshlrev_b64 v[21:22], 1, v[21:22]
	v_add_co_ci_u32_e32 v29, vcc_lo, s39, v5, vcc_lo
	v_lshlrev_b64 v[4:5], 1, v[23:24]
	v_ashrrev_i32_e32 v28, 31, v27
	v_add_co_u32 v19, vcc_lo, v19, v21
	s_delay_alu instid0(VALU_DEP_4) | instskip(SKIP_1) | instid1(VALU_DEP_3)
	v_add_co_ci_u32_e32 v23, vcc_lo, v29, v22, vcc_lo
	v_lshlrev_b64 v[21:22], 1, v[25:26]
	v_add_co_u32 v4, vcc_lo, v19, v4
	s_delay_alu instid0(VALU_DEP_3) | instskip(SKIP_1) | instid1(VALU_DEP_3)
	v_add_co_ci_u32_e32 v5, vcc_lo, v23, v5, vcc_lo
	v_lshlrev_b64 v[23:24], 1, v[27:28]
	v_add_co_u32 v19, vcc_lo, v4, v21
	s_delay_alu instid0(VALU_DEP_3)
	v_add_co_ci_u32_e32 v21, vcc_lo, v5, v22, vcc_lo
	s_waitcnt lgkmcnt(0)
	v_add_co_u32 v4, vcc_lo, s42, v6
	v_add_co_ci_u32_e32 v5, vcc_lo, s43, v7, vcc_lo
	v_add_co_u32 v6, vcc_lo, v19, v23
	v_add_co_ci_u32_e32 v7, vcc_lo, v21, v24, vcc_lo
	v_mov_b32_e32 v19, 0
	s_branch .LBB7_6
.LBB7_5:                                ;   in Loop: Header=BB7_6 Depth=2
	s_set_inst_prefetch_distance 0x2
	v_add_co_u32 v6, vcc_lo, v6, s46
	v_add_co_ci_u32_e32 v7, vcc_lo, s47, v7, vcc_lo
	s_add_i32 s61, s61, 1
	s_delay_alu instid0(SALU_CYCLE_1)
	s_cmp_eq_u32 s61, s12
	s_cbranch_scc1 .LBB7_15
.LBB7_6:                                ;   Parent Loop BB7_3 Depth=1
                                        ; =>  This Loop Header: Depth=2
                                        ;       Child Loop BB7_9 Depth 3
                                        ;         Child Loop BB7_12 Depth 4
	s_and_not1_b32 vcc_lo, exec_lo, s49
	s_cbranch_vccnz .LBB7_5
; %bb.7:                                ;   in Loop: Header=BB7_6 Depth=2
	v_add_nc_u32_e32 v21, s61, v17
	s_mov_b32 s62, 0
	s_delay_alu instid0(VALU_DEP_1)
	v_cmp_lt_i32_e64 s0, -1, v21
	v_cmp_gt_i32_e64 s1, s5, v21
	s_set_inst_prefetch_distance 0x1
	s_branch .LBB7_9
	.p2align	6
.LBB7_8:                                ;   in Loop: Header=BB7_9 Depth=3
	v_add_co_u32 v6, vcc_lo, v6, s44
	v_add_co_ci_u32_e32 v7, vcc_lo, s45, v7, vcc_lo
	s_add_i32 s62, s62, 1
	s_delay_alu instid0(SALU_CYCLE_1)
	s_cmp_eq_u32 s62, s13
	s_cbranch_scc1 .LBB7_5
.LBB7_9:                                ;   Parent Loop BB7_3 Depth=1
                                        ;     Parent Loop BB7_6 Depth=2
                                        ; =>    This Loop Header: Depth=3
                                        ;         Child Loop BB7_12 Depth 4
	s_and_not1_b32 vcc_lo, exec_lo, s50
	s_cbranch_vccnz .LBB7_8
; %bb.10:                               ;   in Loop: Header=BB7_9 Depth=3
	v_dual_mov_b32 v21, v20 :: v_dual_add_nc_u32 v22, s62, v18
	s_mov_b32 s64, s14
	s_delay_alu instid0(VALU_DEP_1) | instskip(SKIP_1) | instid1(VALU_DEP_2)
	v_cmp_lt_i32_e64 s2, -1, v22
	v_cmp_gt_i32_e32 vcc_lo, s6, v22
	s_and_b32 s63, s0, s2
	s_branch .LBB7_12
	.p2align	6
.LBB7_11:                               ;   in Loop: Header=BB7_12 Depth=4
	s_or_b32 exec_lo, exec_lo, s2
	v_add_co_u32 v4, s2, v4, 2
	s_delay_alu instid0(VALU_DEP_1) | instskip(SKIP_1) | instid1(VALU_DEP_1)
	v_add_co_ci_u32_e64 v5, s2, 0, v5, s2
	v_add_co_u32 v6, s2, v6, 2
	v_add_co_ci_u32_e64 v7, s2, 0, v7, s2
	v_add_nc_u32_e32 v21, 1, v21
	s_add_i32 s64, s64, -1
	s_delay_alu instid0(SALU_CYCLE_1)
	s_cmp_eq_u32 s64, 0
	s_cbranch_scc1 .LBB7_8
.LBB7_12:                               ;   Parent Loop BB7_3 Depth=1
                                        ;     Parent Loop BB7_6 Depth=2
                                        ;       Parent Loop BB7_9 Depth=3
                                        ; =>      This Inner Loop Header: Depth=4
	s_delay_alu instid0(VALU_DEP_1) | instskip(NEXT) | instid1(VALU_DEP_1)
	v_cmp_lt_i32_e64 s2, -1, v21
	s_and_b32 s65, s63, s2
	v_cmp_gt_i32_e64 s2, s7, v21
	s_and_b32 s65, s65, s1
	s_delay_alu instid0(SALU_CYCLE_1)
	s_and_b32 s65, s65, vcc_lo
	s_delay_alu instid0(VALU_DEP_1) | instid1(SALU_CYCLE_1)
	s_and_b32 s65, s65, s2
	s_delay_alu instid0(SALU_CYCLE_1)
	s_and_saveexec_b32 s2, s65
	s_cbranch_execz .LBB7_11
; %bb.13:                               ;   in Loop: Header=BB7_12 Depth=4
	global_load_u16 v22, v[4:5], off
	global_load_u16 v23, v[6:7], off
	s_waitcnt vmcnt(0)
	v_fma_mix_f32 v19, v22, v23, v19 op_sel_hi:[1,1,0]
	s_branch .LBB7_11
.LBB7_14:                               ;   in Loop: Header=BB7_3 Depth=1
	v_mov_b32_e32 v19, 0
.LBB7_15:                               ;   in Loop: Header=BB7_3 Depth=1
	s_and_b32 vcc_lo, exec_lo, s51
	s_cbranch_vccz .LBB7_2
; %bb.16:                               ;   in Loop: Header=BB7_3 Depth=1
	v_lshlrev_b64 v[4:5], 1, v[0:1]
	s_delay_alu instid0(VALU_DEP_1) | instskip(NEXT) | instid1(VALU_DEP_2)
	v_add_co_u32 v4, vcc_lo, s34, v4
	v_add_co_ci_u32_e32 v5, vcc_lo, s35, v5, vcc_lo
	global_load_u16 v1, v[4:5], off
	s_waitcnt vmcnt(0)
	v_cvt_f32_f16_e32 v1, v1
	s_delay_alu instid0(VALU_DEP_1)
	v_add_f32_e32 v19, v19, v1
	s_branch .LBB7_2
.LBB7_17:
	s_nop 0
	s_sendmsg sendmsg(MSG_DEALLOC_VGPRS)
	s_endpgm
	.section	.rodata,"a",@progbits
	.p2align	6, 0x0
	.amdhsa_kernel _ZN2at6native12_GLOBAL__N_128conv_depthwise3d_cuda_kernelIN3c104HalfEfLin1ELin1ELin1ELi1ELi1ELi1EEEvN5torch10headeronly6detail27GenericPackedTensorAccessorINS7_14TensorAccessorINS3_8ArrayRefIlEEKT_Lm4ENS6_16DefaultPtrTraitsEiEENS_6detail16IndexBoundsCheckILm5EiEESD_Lm5ESE_iEENS8_INS9_ISB_SC_Lm4ESE_iEESI_SC_Lm5ESE_iEESJ_PSD_iiiiiiiii
		.amdhsa_group_segment_fixed_size 0
		.amdhsa_private_segment_fixed_size 0
		.amdhsa_kernarg_size 448
		.amdhsa_user_sgpr_count 15
		.amdhsa_user_sgpr_dispatch_ptr 0
		.amdhsa_user_sgpr_queue_ptr 0
		.amdhsa_user_sgpr_kernarg_segment_ptr 1
		.amdhsa_user_sgpr_dispatch_id 0
		.amdhsa_user_sgpr_private_segment_size 0
		.amdhsa_wavefront_size32 1
		.amdhsa_uses_dynamic_stack 0
		.amdhsa_enable_private_segment 0
		.amdhsa_system_sgpr_workgroup_id_x 1
		.amdhsa_system_sgpr_workgroup_id_y 0
		.amdhsa_system_sgpr_workgroup_id_z 0
		.amdhsa_system_sgpr_workgroup_info 0
		.amdhsa_system_vgpr_workitem_id 0
		.amdhsa_next_free_vgpr 30
		.amdhsa_next_free_sgpr 66
		.amdhsa_reserve_vcc 1
		.amdhsa_float_round_mode_32 0
		.amdhsa_float_round_mode_16_64 0
		.amdhsa_float_denorm_mode_32 3
		.amdhsa_float_denorm_mode_16_64 3
		.amdhsa_dx10_clamp 1
		.amdhsa_ieee_mode 1
		.amdhsa_fp16_overflow 0
		.amdhsa_workgroup_processor_mode 1
		.amdhsa_memory_ordered 1
		.amdhsa_forward_progress 0
		.amdhsa_shared_vgpr_count 0
		.amdhsa_exception_fp_ieee_invalid_op 0
		.amdhsa_exception_fp_denorm_src 0
		.amdhsa_exception_fp_ieee_div_zero 0
		.amdhsa_exception_fp_ieee_overflow 0
		.amdhsa_exception_fp_ieee_underflow 0
		.amdhsa_exception_fp_ieee_inexact 0
		.amdhsa_exception_int_div_zero 0
	.end_amdhsa_kernel
	.section	.text._ZN2at6native12_GLOBAL__N_128conv_depthwise3d_cuda_kernelIN3c104HalfEfLin1ELin1ELin1ELi1ELi1ELi1EEEvN5torch10headeronly6detail27GenericPackedTensorAccessorINS7_14TensorAccessorINS3_8ArrayRefIlEEKT_Lm4ENS6_16DefaultPtrTraitsEiEENS_6detail16IndexBoundsCheckILm5EiEESD_Lm5ESE_iEENS8_INS9_ISB_SC_Lm4ESE_iEESI_SC_Lm5ESE_iEESJ_PSD_iiiiiiiii,"axG",@progbits,_ZN2at6native12_GLOBAL__N_128conv_depthwise3d_cuda_kernelIN3c104HalfEfLin1ELin1ELin1ELi1ELi1ELi1EEEvN5torch10headeronly6detail27GenericPackedTensorAccessorINS7_14TensorAccessorINS3_8ArrayRefIlEEKT_Lm4ENS6_16DefaultPtrTraitsEiEENS_6detail16IndexBoundsCheckILm5EiEESD_Lm5ESE_iEENS8_INS9_ISB_SC_Lm4ESE_iEESI_SC_Lm5ESE_iEESJ_PSD_iiiiiiiii,comdat
.Lfunc_end7:
	.size	_ZN2at6native12_GLOBAL__N_128conv_depthwise3d_cuda_kernelIN3c104HalfEfLin1ELin1ELin1ELi1ELi1ELi1EEEvN5torch10headeronly6detail27GenericPackedTensorAccessorINS7_14TensorAccessorINS3_8ArrayRefIlEEKT_Lm4ENS6_16DefaultPtrTraitsEiEENS_6detail16IndexBoundsCheckILm5EiEESD_Lm5ESE_iEENS8_INS9_ISB_SC_Lm4ESE_iEESI_SC_Lm5ESE_iEESJ_PSD_iiiiiiiii, .Lfunc_end7-_ZN2at6native12_GLOBAL__N_128conv_depthwise3d_cuda_kernelIN3c104HalfEfLin1ELin1ELin1ELi1ELi1ELi1EEEvN5torch10headeronly6detail27GenericPackedTensorAccessorINS7_14TensorAccessorINS3_8ArrayRefIlEEKT_Lm4ENS6_16DefaultPtrTraitsEiEENS_6detail16IndexBoundsCheckILm5EiEESD_Lm5ESE_iEENS8_INS9_ISB_SC_Lm4ESE_iEESI_SC_Lm5ESE_iEESJ_PSD_iiiiiiiii
                                        ; -- End function
	.section	.AMDGPU.csdata,"",@progbits
; Kernel info:
; codeLenInByte = 2132
; NumSgprs: 68
; NumVgprs: 30
; ScratchSize: 0
; MemoryBound: 0
; FloatMode: 240
; IeeeMode: 1
; LDSByteSize: 0 bytes/workgroup (compile time only)
; SGPRBlocks: 8
; VGPRBlocks: 3
; NumSGPRsForWavesPerEU: 68
; NumVGPRsForWavesPerEU: 30
; Occupancy: 16
; WaveLimiterHint : 0
; COMPUTE_PGM_RSRC2:SCRATCH_EN: 0
; COMPUTE_PGM_RSRC2:USER_SGPR: 15
; COMPUTE_PGM_RSRC2:TRAP_HANDLER: 0
; COMPUTE_PGM_RSRC2:TGID_X_EN: 1
; COMPUTE_PGM_RSRC2:TGID_Y_EN: 0
; COMPUTE_PGM_RSRC2:TGID_Z_EN: 0
; COMPUTE_PGM_RSRC2:TIDIG_COMP_CNT: 0
	.section	.text._ZN2at6native12_GLOBAL__N_128conv_depthwise3d_cuda_kernelIN3c104HalfEfLin1ELin1ELin1ELin1ELin1ELin1EEEvN5torch10headeronly6detail27GenericPackedTensorAccessorINS7_14TensorAccessorINS3_8ArrayRefIlEEKT_Lm4ENS6_16DefaultPtrTraitsEiEENS_6detail16IndexBoundsCheckILm5EiEESD_Lm5ESE_iEENS8_INS9_ISB_SC_Lm4ESE_iEESI_SC_Lm5ESE_iEESJ_PSD_iiiiiiiii,"axG",@progbits,_ZN2at6native12_GLOBAL__N_128conv_depthwise3d_cuda_kernelIN3c104HalfEfLin1ELin1ELin1ELin1ELin1ELin1EEEvN5torch10headeronly6detail27GenericPackedTensorAccessorINS7_14TensorAccessorINS3_8ArrayRefIlEEKT_Lm4ENS6_16DefaultPtrTraitsEiEENS_6detail16IndexBoundsCheckILm5EiEESD_Lm5ESE_iEENS8_INS9_ISB_SC_Lm4ESE_iEESI_SC_Lm5ESE_iEESJ_PSD_iiiiiiiii,comdat
	.globl	_ZN2at6native12_GLOBAL__N_128conv_depthwise3d_cuda_kernelIN3c104HalfEfLin1ELin1ELin1ELin1ELin1ELin1EEEvN5torch10headeronly6detail27GenericPackedTensorAccessorINS7_14TensorAccessorINS3_8ArrayRefIlEEKT_Lm4ENS6_16DefaultPtrTraitsEiEENS_6detail16IndexBoundsCheckILm5EiEESD_Lm5ESE_iEENS8_INS9_ISB_SC_Lm4ESE_iEESI_SC_Lm5ESE_iEESJ_PSD_iiiiiiiii ; -- Begin function _ZN2at6native12_GLOBAL__N_128conv_depthwise3d_cuda_kernelIN3c104HalfEfLin1ELin1ELin1ELin1ELin1ELin1EEEvN5torch10headeronly6detail27GenericPackedTensorAccessorINS7_14TensorAccessorINS3_8ArrayRefIlEEKT_Lm4ENS6_16DefaultPtrTraitsEiEENS_6detail16IndexBoundsCheckILm5EiEESD_Lm5ESE_iEENS8_INS9_ISB_SC_Lm4ESE_iEESI_SC_Lm5ESE_iEESJ_PSD_iiiiiiiii
	.p2align	8
	.type	_ZN2at6native12_GLOBAL__N_128conv_depthwise3d_cuda_kernelIN3c104HalfEfLin1ELin1ELin1ELin1ELin1ELin1EEEvN5torch10headeronly6detail27GenericPackedTensorAccessorINS7_14TensorAccessorINS3_8ArrayRefIlEEKT_Lm4ENS6_16DefaultPtrTraitsEiEENS_6detail16IndexBoundsCheckILm5EiEESD_Lm5ESE_iEENS8_INS9_ISB_SC_Lm4ESE_iEESI_SC_Lm5ESE_iEESJ_PSD_iiiiiiiii,@function
_ZN2at6native12_GLOBAL__N_128conv_depthwise3d_cuda_kernelIN3c104HalfEfLin1ELin1ELin1ELin1ELin1ELin1EEEvN5torch10headeronly6detail27GenericPackedTensorAccessorINS7_14TensorAccessorINS3_8ArrayRefIlEEKT_Lm4ENS6_16DefaultPtrTraitsEiEENS_6detail16IndexBoundsCheckILm5EiEESD_Lm5ESE_iEENS8_INS9_ISB_SC_Lm4ESE_iEESI_SC_Lm5ESE_iEESJ_PSD_iiiiiiiii: ; @_ZN2at6native12_GLOBAL__N_128conv_depthwise3d_cuda_kernelIN3c104HalfEfLin1ELin1ELin1ELin1ELin1ELin1EEEvN5torch10headeronly6detail27GenericPackedTensorAccessorINS7_14TensorAccessorINS3_8ArrayRefIlEEKT_Lm4ENS6_16DefaultPtrTraitsEiEENS_6detail16IndexBoundsCheckILm5EiEESD_Lm5ESE_iEENS8_INS9_ISB_SC_Lm4ESE_iEESI_SC_Lm5ESE_iEESJ_PSD_iiiiiiiii
; %bb.0:
	s_clause 0x3
	s_load_b128 s[16:19], s[0:1], 0xc
	s_load_b32 s4, s[0:1], 0xcc
	s_load_b128 s[20:23], s[0:1], 0x38
	s_load_b64 s[34:35], s[0:1], 0x48
	s_mov_b32 s5, exec_lo
	s_waitcnt lgkmcnt(0)
	s_abs_i32 s24, s16
	s_add_u32 s2, s0, 0xc0
	v_cvt_f32_u32_e32 v1, s24
	s_addc_u32 s3, s1, 0
	s_and_b32 s48, s4, 0xffff
	s_mul_i32 s36, s35, s20
	s_delay_alu instid0(SALU_CYCLE_1) | instskip(SKIP_3) | instid1(VALU_DEP_1)
	s_ashr_i32 s37, s36, 31
	v_rcp_iflag_f32_e32 v2, v1
	s_waitcnt_depctr 0xfff
	v_dual_mov_b32 v1, 0 :: v_dual_mul_f32 v4, 0x4f7ffffe, v2
	v_mad_u64_u32 v[2:3], null, s48, s15, v[0:1]
	s_delay_alu instid0(VALU_DEP_2) | instskip(NEXT) | instid1(VALU_DEP_1)
	v_cvt_u32_f32_e32 v0, v4
	v_readfirstlane_b32 s4, v0
	s_delay_alu instid0(VALU_DEP_3)
	v_cmpx_gt_i64_e64 s[36:37], v[2:3]
	s_cbranch_execz .LBB8_17
; %bb.1:
	s_sub_i32 s5, 0, s24
	s_ashr_i32 s25, s16, 31
	s_mul_i32 s5, s5, s4
	s_abs_i32 s16, s21
	s_mul_hi_u32 s5, s4, s5
	s_clause 0x1
	s_load_b128 s[12:15], s[0:1], 0x70
	s_load_b64 s[40:41], s[0:1], 0x90
	s_add_i32 s4, s4, s5
	s_ashr_i32 s20, s21, 31
	s_waitcnt lgkmcnt(0)
	s_mul_hi_u32 s15, s16, s4
	s_load_b256 s[4:11], s[0:1], 0x98
	s_mul_i32 s26, s15, s24
	s_load_b32 s38, s[0:1], 0xb8
	s_sub_i32 s26, s16, s26
	s_xor_b32 s25, s20, s25
	s_add_i32 s27, s15, 1
	s_sub_i32 s28, s26, s24
	s_cmp_ge_u32 s26, s24
	s_load_b32 s2, s[2:3], 0x0
	s_cselect_b32 s15, s27, s15
	s_cselect_b32 s26, s28, s26
	s_add_i32 s27, s15, 1
	s_cmp_ge_u32 s26, s24
	v_cvt_f32_u32_e32 v5, s16
	s_cselect_b32 s15, s27, s15
	s_mov_b32 s59, 0
	s_xor_b32 s24, s15, s25
	s_load_b32 s15, s[0:1], 0x7c
	s_sub_i32 s49, s24, s25
	s_cmp_gt_i32 s12, 0
	s_waitcnt lgkmcnt(0)
	s_mul_i32 s25, s18, s10
	s_cselect_b32 s33, -1, 0
	s_cmp_gt_i32 s13, 0
	s_mul_i32 s26, s13, s11
	s_cselect_b32 s54, -1, 0
	s_cmp_gt_i32 s14, 0
	s_mul_i32 s24, s19, s11
	s_cselect_b32 s55, -1, 0
	s_mul_i32 s27, s14, s38
	s_sub_i32 s25, s25, s26
	s_sub_i32 s50, s24, s27
	s_mul_i32 s52, s25, s19
	s_ashr_i32 s39, s38, 31
	s_ashr_i32 s51, s50, 31
	;; [unrolled: 1-line block ×3, first 2 shown]
	s_cmp_lg_u64 s[40:41], 0
	v_rcp_iflag_f32_e32 v5, v5
	s_cselect_b32 s56, -1, 0
	s_abs_i32 s57, s34
	s_abs_i32 s58, s23
	v_cvt_f32_u32_e32 v0, s57
	v_cvt_f32_u32_e32 v1, s58
	s_abs_i32 s3, s22
	s_abs_i32 s60, s49
	v_cvt_f32_u32_e32 v4, s3
	v_rcp_iflag_f32_e32 v0, v0
	v_rcp_iflag_f32_e32 v1, v1
	v_cvt_f32_u32_e32 v6, s60
	s_sub_i32 s29, 0, s58
	v_rcp_iflag_f32_e32 v4, v4
	v_mul_f32_e32 v5, 0x4f7ffffe, v5
	s_sub_i32 s28, 0, s57
	v_rcp_iflag_f32_e32 v6, v6
	s_clause 0x3
	s_load_b64 s[42:43], s[0:1], 0x0
	s_load_b128 s[24:27], s[0:1], 0x1c
	s_load_b32 s61, s[0:1], 0x2c
	s_load_b64 s[44:45], s[0:1], 0x30
	v_dual_mul_f32 v0, 0x4f7ffffe, v0 :: v_dual_mul_f32 v1, 0x4f7ffffe, v1
	v_cvt_u32_f32_e32 v5, v5
	s_mul_i32 s62, s2, s48
	s_waitcnt_depctr 0xfff
	v_mul_f32_e32 v4, 0x4f7ffffe, v4
	v_cvt_u32_f32_e32 v0, v0
	v_cvt_u32_f32_e32 v1, v1
	s_ashr_i32 s63, s34, 31
	s_ashr_i32 s64, s23, 31
	v_cvt_u32_f32_e32 v4, v4
	v_mul_lo_u32 v7, s28, v0
	v_mul_lo_u32 v8, s29, v1
	s_sub_i32 s28, 0, s3
	s_sub_i32 s29, 0, s16
	v_mul_lo_u32 v9, s28, v4
	s_sub_i32 s28, 0, s60
	v_mul_lo_u32 v10, s29, v5
	s_ashr_i32 s65, s22, 31
	v_mul_hi_u32 v7, v0, v7
	v_mul_hi_u32 v8, v1, v8
	v_mul_f32_e32 v6, 0x4f7ffffe, v6
	s_ashr_i32 s66, s49, 31
	v_mul_hi_u32 v9, v4, v9
	s_lshl_b64 s[48:49], s[38:39], 1
	v_mul_hi_u32 v13, v5, v10
	v_cvt_u32_f32_e32 v6, v6
	v_add_nc_u32_e32 v10, v0, v7
	s_lshl_b64 s[50:51], s[50:51], 1
	s_lshl_b64 s[52:53], s[52:53], 1
	s_delay_alu instid0(VALU_DEP_2)
	v_mul_lo_u32 v11, s28, v6
	s_clause 0x1
	s_load_b64 s[46:47], s[0:1], 0x60
	s_load_b128 s[28:31], s[0:1], 0x50
	v_add_nc_u32_e32 v12, v4, v9
	v_add_nc_u32_e32 v13, v5, v13
	s_delay_alu instid0(VALU_DEP_3) | instskip(SKIP_1) | instid1(VALU_DEP_2)
	v_mul_hi_u32 v14, v6, v11
	v_add_nc_u32_e32 v11, v1, v8
	v_add_nc_u32_e32 v14, v6, v14
	s_branch .LBB8_3
.LBB8_2:                                ;   in Loop: Header=BB8_3 Depth=1
	v_mul_lo_u32 v4, v18, s35
	s_waitcnt lgkmcnt(0)
	v_mul_lo_u32 v0, s28, v0
	v_mul_lo_u32 v6, s29, v17
	;; [unrolled: 1-line block ×3, first 2 shown]
	v_add_co_u32 v2, vcc_lo, v2, s62
	v_add_co_ci_u32_e32 v3, vcc_lo, 0, v3, vcc_lo
	v_ashrrev_i32_e32 v5, 31, v4
	v_ashrrev_i32_e32 v1, 31, v0
	v_ashrrev_i32_e32 v7, 31, v6
	v_mul_lo_u32 v15, s31, v15
	v_cvt_f16_f32_e32 v18, v19
	v_lshlrev_b64 v[4:5], 1, v[4:5]
	v_lshlrev_b64 v[0:1], 1, v[0:1]
	v_ashrrev_i32_e32 v9, 31, v8
	v_ashrrev_i32_e32 v16, 31, v15
	s_delay_alu instid0(VALU_DEP_4) | instskip(SKIP_2) | instid1(VALU_DEP_3)
	v_add_co_u32 v17, vcc_lo, s44, v4
	v_add_co_ci_u32_e32 v19, vcc_lo, s45, v5, vcc_lo
	v_lshlrev_b64 v[4:5], 1, v[6:7]
	v_add_co_u32 v6, vcc_lo, v17, v0
	s_delay_alu instid0(VALU_DEP_3) | instskip(SKIP_1) | instid1(VALU_DEP_3)
	v_add_co_ci_u32_e32 v7, vcc_lo, v19, v1, vcc_lo
	v_lshlrev_b64 v[0:1], 1, v[8:9]
	v_add_co_u32 v6, vcc_lo, v6, v4
	s_delay_alu instid0(VALU_DEP_3) | instskip(SKIP_1) | instid1(VALU_DEP_3)
	;; [unrolled: 4-line block ×3, first 2 shown]
	v_add_co_ci_u32_e32 v1, vcc_lo, v7, v1, vcc_lo
	v_cmp_le_i64_e32 vcc_lo, s[36:37], v[2:3]
	v_add_co_u32 v0, s0, v0, v4
	s_delay_alu instid0(VALU_DEP_1)
	v_add_co_ci_u32_e64 v1, s0, v1, v5, s0
	s_or_b32 s59, vcc_lo, s59
	global_store_b16 v[0:1], v18, off
	s_and_not1_b32 exec_lo, exec_lo, s59
	s_cbranch_execz .LBB8_17
.LBB8_3:                                ; =>This Loop Header: Depth=1
                                        ;     Child Loop BB8_6 Depth 2
                                        ;       Child Loop BB8_9 Depth 3
                                        ;         Child Loop BB8_12 Depth 4
	v_sub_nc_u32_e32 v0, 0, v2
	s_delay_alu instid0(VALU_DEP_1) | instskip(NEXT) | instid1(VALU_DEP_1)
	v_max_i32_e32 v0, v2, v0
	v_mul_hi_u32 v1, v0, v10
	s_delay_alu instid0(VALU_DEP_1) | instskip(NEXT) | instid1(VALU_DEP_1)
	v_mul_lo_u32 v4, v1, s57
	v_sub_nc_u32_e32 v0, v0, v4
	v_add_nc_u32_e32 v4, 1, v1
	s_delay_alu instid0(VALU_DEP_2) | instskip(SKIP_1) | instid1(VALU_DEP_2)
	v_subrev_nc_u32_e32 v5, s57, v0
	v_cmp_le_u32_e32 vcc_lo, s57, v0
	v_dual_cndmask_b32 v1, v1, v4 :: v_dual_cndmask_b32 v0, v0, v5
	v_ashrrev_i32_e32 v4, 31, v2
	s_delay_alu instid0(VALU_DEP_2) | instskip(NEXT) | instid1(VALU_DEP_3)
	v_add_nc_u32_e32 v5, 1, v1
	v_cmp_le_u32_e32 vcc_lo, s57, v0
	s_delay_alu instid0(VALU_DEP_3) | instskip(NEXT) | instid1(VALU_DEP_3)
	v_xor_b32_e32 v4, s63, v4
	v_cndmask_b32_e32 v0, v1, v5, vcc_lo
	s_delay_alu instid0(VALU_DEP_1) | instskip(NEXT) | instid1(VALU_DEP_1)
	v_xor_b32_e32 v0, v0, v4
	v_sub_nc_u32_e32 v1, v0, v4
	s_delay_alu instid0(VALU_DEP_1) | instskip(NEXT) | instid1(VALU_DEP_1)
	v_sub_nc_u32_e32 v0, 0, v1
	v_max_i32_e32 v0, v1, v0
	s_delay_alu instid0(VALU_DEP_1) | instskip(NEXT) | instid1(VALU_DEP_1)
	v_mul_hi_u32 v4, v0, v11
	v_mul_lo_u32 v5, v4, s58
	s_delay_alu instid0(VALU_DEP_1) | instskip(SKIP_1) | instid1(VALU_DEP_2)
	v_sub_nc_u32_e32 v0, v0, v5
	v_add_nc_u32_e32 v5, 1, v4
	v_subrev_nc_u32_e32 v6, s58, v0
	v_cmp_le_u32_e32 vcc_lo, s58, v0
	s_delay_alu instid0(VALU_DEP_3) | instskip(NEXT) | instid1(VALU_DEP_3)
	v_cndmask_b32_e32 v4, v4, v5, vcc_lo
	v_cndmask_b32_e32 v0, v0, v6, vcc_lo
	v_ashrrev_i32_e32 v5, 31, v1
	s_delay_alu instid0(VALU_DEP_3) | instskip(NEXT) | instid1(VALU_DEP_3)
	v_add_nc_u32_e32 v6, 1, v4
	v_cmp_le_u32_e32 vcc_lo, s58, v0
	s_delay_alu instid0(VALU_DEP_3) | instskip(NEXT) | instid1(VALU_DEP_3)
	v_xor_b32_e32 v5, s64, v5
	v_cndmask_b32_e32 v0, v4, v6, vcc_lo
	s_delay_alu instid0(VALU_DEP_1) | instskip(NEXT) | instid1(VALU_DEP_1)
	v_xor_b32_e32 v0, v0, v5
	v_sub_nc_u32_e32 v4, v0, v5
	s_delay_alu instid0(VALU_DEP_1) | instskip(NEXT) | instid1(VALU_DEP_1)
	v_sub_nc_u32_e32 v0, 0, v4
	v_max_i32_e32 v0, v4, v0
	s_delay_alu instid0(VALU_DEP_1) | instskip(NEXT) | instid1(VALU_DEP_1)
	v_mul_hi_u32 v5, v0, v12
	v_mul_lo_u32 v6, v5, s3
	s_delay_alu instid0(VALU_DEP_1) | instskip(SKIP_1) | instid1(VALU_DEP_2)
	v_sub_nc_u32_e32 v0, v0, v6
	v_add_nc_u32_e32 v6, 1, v5
	v_subrev_nc_u32_e32 v7, s3, v0
	v_cmp_le_u32_e32 vcc_lo, s3, v0
	s_delay_alu instid0(VALU_DEP_2) | instskip(SKIP_1) | instid1(VALU_DEP_2)
	v_dual_cndmask_b32 v5, v5, v6 :: v_dual_cndmask_b32 v0, v0, v7
	v_ashrrev_i32_e32 v6, 31, v4
	v_add_nc_u32_e32 v7, 1, v5
	s_delay_alu instid0(VALU_DEP_3) | instskip(NEXT) | instid1(VALU_DEP_3)
	v_cmp_le_u32_e32 vcc_lo, s3, v0
	v_xor_b32_e32 v6, s65, v6
	s_delay_alu instid0(VALU_DEP_3) | instskip(NEXT) | instid1(VALU_DEP_1)
	v_cndmask_b32_e32 v0, v5, v7, vcc_lo
	v_xor_b32_e32 v0, v0, v6
	s_delay_alu instid0(VALU_DEP_1) | instskip(NEXT) | instid1(VALU_DEP_1)
	v_sub_nc_u32_e32 v0, v0, v6
	v_sub_nc_u32_e32 v5, 0, v0
	s_delay_alu instid0(VALU_DEP_1) | instskip(NEXT) | instid1(VALU_DEP_1)
	v_max_i32_e32 v5, v0, v5
	v_mul_hi_u32 v6, v5, v13
	s_delay_alu instid0(VALU_DEP_1) | instskip(NEXT) | instid1(VALU_DEP_1)
	v_mul_lo_u32 v7, v6, s16
	v_sub_nc_u32_e32 v5, v5, v7
	v_add_nc_u32_e32 v7, 1, v6
	s_delay_alu instid0(VALU_DEP_2) | instskip(SKIP_1) | instid1(VALU_DEP_2)
	v_subrev_nc_u32_e32 v8, s16, v5
	v_cmp_le_u32_e32 vcc_lo, s16, v5
	v_dual_cndmask_b32 v6, v6, v7 :: v_dual_cndmask_b32 v5, v5, v8
	v_ashrrev_i32_e32 v7, 31, v0
	s_delay_alu instid0(VALU_DEP_2) | instskip(NEXT) | instid1(VALU_DEP_3)
	v_add_nc_u32_e32 v8, 1, v6
	v_cmp_le_u32_e32 vcc_lo, s16, v5
	s_delay_alu instid0(VALU_DEP_3) | instskip(NEXT) | instid1(VALU_DEP_3)
	v_xor_b32_e32 v7, s20, v7
	v_cndmask_b32_e32 v5, v6, v8, vcc_lo
	v_mul_lo_u32 v6, v1, s34
	v_mul_lo_u32 v8, v0, s22
	s_and_not1_b32 vcc_lo, exec_lo, s33
	s_delay_alu instid0(VALU_DEP_3) | instskip(NEXT) | instid1(VALU_DEP_3)
	v_xor_b32_e32 v5, v5, v7
	v_sub_nc_u32_e32 v15, v2, v6
	s_delay_alu instid0(VALU_DEP_2) | instskip(SKIP_2) | instid1(VALU_DEP_3)
	v_sub_nc_u32_e32 v18, v5, v7
	v_mul_lo_u32 v7, v4, s23
	v_sub_nc_u32_e32 v17, v4, v8
	v_mul_lo_u32 v5, v18, s21
	s_delay_alu instid0(VALU_DEP_3) | instskip(NEXT) | instid1(VALU_DEP_2)
	v_sub_nc_u32_e32 v16, v1, v7
	v_sub_nc_u32_e32 v0, v0, v5
	s_delay_alu instid0(VALU_DEP_1)
	v_ashrrev_i32_e32 v1, 31, v0
	s_cbranch_vccnz .LBB8_14
; %bb.4:                                ;   in Loop: Header=BB8_3 Depth=1
	v_sub_nc_u32_e32 v4, 0, v0
	v_mul_lo_u32 v9, v16, s5
	v_mul_lo_u32 v19, v15, s6
	;; [unrolled: 1-line block ×3, first 2 shown]
	s_mov_b32 s39, 0
	v_max_i32_e32 v4, v0, v4
	s_delay_alu instid0(VALU_DEP_3) | instskip(NEXT) | instid1(VALU_DEP_2)
	v_subrev_nc_u32_e32 v20, s9, v19
	v_mul_hi_u32 v5, v4, v14
	s_waitcnt lgkmcnt(0)
	s_delay_alu instid0(VALU_DEP_2) | instskip(NEXT) | instid1(VALU_DEP_2)
	v_mul_lo_u32 v27, s61, v20
	v_mul_lo_u32 v6, v5, s60
	s_delay_alu instid0(VALU_DEP_2) | instskip(NEXT) | instid1(VALU_DEP_2)
	v_ashrrev_i32_e32 v28, 31, v27
	v_sub_nc_u32_e32 v4, v4, v6
	v_add_nc_u32_e32 v6, 1, v5
	s_delay_alu instid0(VALU_DEP_2) | instskip(SKIP_1) | instid1(VALU_DEP_2)
	v_subrev_nc_u32_e32 v7, s60, v4
	v_cmp_le_u32_e32 vcc_lo, s60, v4
	v_dual_cndmask_b32 v5, v5, v6 :: v_dual_cndmask_b32 v4, v4, v7
	v_xor_b32_e32 v7, s66, v1
	s_delay_alu instid0(VALU_DEP_2) | instskip(NEXT) | instid1(VALU_DEP_3)
	v_add_nc_u32_e32 v6, 1, v5
	v_cmp_le_u32_e32 vcc_lo, s60, v4
	s_delay_alu instid0(VALU_DEP_2) | instskip(SKIP_2) | instid1(VALU_DEP_3)
	v_cndmask_b32_e32 v4, v5, v6, vcc_lo
	v_mul_lo_u32 v5, v17, s4
	v_mul_lo_u32 v6, s24, v18
	v_xor_b32_e32 v4, v4, v7
	s_delay_alu instid0(VALU_DEP_1) | instskip(NEXT) | instid1(VALU_DEP_4)
	v_sub_nc_u32_e32 v7, v4, v7
	v_subrev_nc_u32_e32 v4, s7, v5
	v_subrev_nc_u32_e32 v5, s8, v9
	v_ashrrev_i32_e32 v9, 31, v8
	s_delay_alu instid0(VALU_DEP_4) | instskip(SKIP_4) | instid1(VALU_DEP_4)
	v_mul_lo_u32 v21, s25, v7
	v_ashrrev_i32_e32 v7, 31, v6
	v_mul_lo_u32 v23, s26, v4
	v_mul_lo_u32 v25, s27, v5
	v_lshlrev_b64 v[8:9], 1, v[8:9]
	v_lshlrev_b64 v[6:7], 1, v[6:7]
	v_ashrrev_i32_e32 v22, 31, v21
	v_ashrrev_i32_e32 v24, 31, v23
	;; [unrolled: 1-line block ×3, first 2 shown]
	s_delay_alu instid0(VALU_DEP_4) | instskip(NEXT) | instid1(VALU_DEP_4)
	v_add_co_u32 v19, vcc_lo, s42, v6
	v_lshlrev_b64 v[21:22], 1, v[21:22]
	v_add_co_ci_u32_e32 v29, vcc_lo, s43, v7, vcc_lo
	v_lshlrev_b64 v[6:7], 1, v[23:24]
	s_delay_alu instid0(VALU_DEP_3) | instskip(NEXT) | instid1(VALU_DEP_3)
	v_add_co_u32 v19, vcc_lo, v19, v21
	v_add_co_ci_u32_e32 v23, vcc_lo, v29, v22, vcc_lo
	v_lshlrev_b64 v[21:22], 1, v[25:26]
	s_delay_alu instid0(VALU_DEP_3) | instskip(NEXT) | instid1(VALU_DEP_3)
	v_add_co_u32 v6, vcc_lo, v19, v6
	v_add_co_ci_u32_e32 v7, vcc_lo, v23, v7, vcc_lo
	v_lshlrev_b64 v[23:24], 1, v[27:28]
	s_delay_alu instid0(VALU_DEP_3) | instskip(NEXT) | instid1(VALU_DEP_3)
	v_add_co_u32 v19, vcc_lo, v6, v21
	v_add_co_ci_u32_e32 v21, vcc_lo, v7, v22, vcc_lo
	v_add_co_u32 v6, vcc_lo, s46, v8
	v_add_co_ci_u32_e32 v7, vcc_lo, s47, v9, vcc_lo
	s_delay_alu instid0(VALU_DEP_4) | instskip(NEXT) | instid1(VALU_DEP_4)
	v_add_co_u32 v8, vcc_lo, v19, v23
	v_add_co_ci_u32_e32 v9, vcc_lo, v21, v24, vcc_lo
	v_mov_b32_e32 v19, 0
	s_branch .LBB8_6
.LBB8_5:                                ;   in Loop: Header=BB8_6 Depth=2
	s_set_inst_prefetch_distance 0x2
	v_add_co_u32 v8, vcc_lo, v8, s52
	v_add_co_ci_u32_e32 v9, vcc_lo, s53, v9, vcc_lo
	s_add_i32 s39, s39, 1
	s_delay_alu instid0(SALU_CYCLE_1)
	s_cmp_eq_u32 s39, s12
	s_cbranch_scc1 .LBB8_15
.LBB8_6:                                ;   Parent Loop BB8_3 Depth=1
                                        ; =>  This Loop Header: Depth=2
                                        ;       Child Loop BB8_9 Depth 3
                                        ;         Child Loop BB8_12 Depth 4
	s_and_not1_b32 vcc_lo, exec_lo, s54
	s_cbranch_vccnz .LBB8_5
; %bb.7:                                ;   in Loop: Header=BB8_6 Depth=2
	v_mad_u64_u32 v[21:22], null, s39, s10, v[4:5]
	s_mov_b32 s67, 0
	s_delay_alu instid0(VALU_DEP_1)
	v_cmp_lt_i32_e64 s0, -1, v21
	v_cmp_gt_i32_e64 s1, s17, v21
	s_set_inst_prefetch_distance 0x1
	s_branch .LBB8_9
	.p2align	6
.LBB8_8:                                ;   in Loop: Header=BB8_9 Depth=3
	v_add_co_u32 v8, vcc_lo, v8, s50
	v_add_co_ci_u32_e32 v9, vcc_lo, s51, v9, vcc_lo
	s_add_i32 s67, s67, 1
	s_delay_alu instid0(SALU_CYCLE_1)
	s_cmp_eq_u32 s67, s13
	s_cbranch_scc1 .LBB8_5
.LBB8_9:                                ;   Parent Loop BB8_3 Depth=1
                                        ;     Parent Loop BB8_6 Depth=2
                                        ; =>    This Loop Header: Depth=3
                                        ;         Child Loop BB8_12 Depth 4
	s_and_not1_b32 vcc_lo, exec_lo, s55
	s_cbranch_vccnz .LBB8_8
; %bb.10:                               ;   in Loop: Header=BB8_9 Depth=3
	v_mad_u64_u32 v[22:23], null, s67, s11, v[5:6]
	v_mov_b32_e32 v21, v20
	s_mov_b32 s69, s14
	s_delay_alu instid0(VALU_DEP_2) | instskip(SKIP_1) | instid1(VALU_DEP_2)
	v_cmp_lt_i32_e64 s2, -1, v22
	v_cmp_gt_i32_e32 vcc_lo, s18, v22
	s_and_b32 s68, s0, s2
	s_branch .LBB8_12
	.p2align	6
.LBB8_11:                               ;   in Loop: Header=BB8_12 Depth=4
	s_or_b32 exec_lo, exec_lo, s2
	v_add_co_u32 v6, s2, v6, 2
	s_delay_alu instid0(VALU_DEP_1) | instskip(SKIP_4) | instid1(SALU_CYCLE_1)
	v_add_co_ci_u32_e64 v7, s2, 0, v7, s2
	v_add_co_u32 v8, s2, v8, s48
	v_add_nc_u32_e32 v21, s38, v21
	v_add_co_ci_u32_e64 v9, s2, s49, v9, s2
	s_add_i32 s69, s69, -1
	s_cmp_eq_u32 s69, 0
	s_cbranch_scc1 .LBB8_8
.LBB8_12:                               ;   Parent Loop BB8_3 Depth=1
                                        ;     Parent Loop BB8_6 Depth=2
                                        ;       Parent Loop BB8_9 Depth=3
                                        ; =>      This Inner Loop Header: Depth=4
	v_cmp_lt_i32_e64 s2, -1, v21
	s_delay_alu instid0(VALU_DEP_1) | instskip(SKIP_2) | instid1(SALU_CYCLE_1)
	s_and_b32 s70, s68, s2
	v_cmp_gt_i32_e64 s2, s19, v21
	s_and_b32 s70, s70, s1
	s_and_b32 s70, s70, vcc_lo
	s_delay_alu instid0(VALU_DEP_1) | instid1(SALU_CYCLE_1)
	s_and_b32 s70, s70, s2
	s_delay_alu instid0(SALU_CYCLE_1)
	s_and_saveexec_b32 s2, s70
	s_cbranch_execz .LBB8_11
; %bb.13:                               ;   in Loop: Header=BB8_12 Depth=4
	global_load_u16 v22, v[6:7], off
	global_load_u16 v23, v[8:9], off
	s_waitcnt vmcnt(0)
	v_fma_mix_f32 v19, v22, v23, v19 op_sel_hi:[1,1,0]
	s_branch .LBB8_11
.LBB8_14:                               ;   in Loop: Header=BB8_3 Depth=1
	v_mov_b32_e32 v19, 0
.LBB8_15:                               ;   in Loop: Header=BB8_3 Depth=1
	s_and_b32 vcc_lo, exec_lo, s56
	s_cbranch_vccz .LBB8_2
; %bb.16:                               ;   in Loop: Header=BB8_3 Depth=1
	v_lshlrev_b64 v[4:5], 1, v[0:1]
	s_delay_alu instid0(VALU_DEP_1) | instskip(NEXT) | instid1(VALU_DEP_2)
	v_add_co_u32 v4, vcc_lo, s40, v4
	v_add_co_ci_u32_e32 v5, vcc_lo, s41, v5, vcc_lo
	global_load_u16 v1, v[4:5], off
	s_waitcnt vmcnt(0)
	v_cvt_f32_f16_e32 v1, v1
	s_delay_alu instid0(VALU_DEP_1)
	v_add_f32_e32 v19, v19, v1
	s_branch .LBB8_2
.LBB8_17:
	s_nop 0
	s_sendmsg sendmsg(MSG_DEALLOC_VGPRS)
	s_endpgm
	.section	.rodata,"a",@progbits
	.p2align	6, 0x0
	.amdhsa_kernel _ZN2at6native12_GLOBAL__N_128conv_depthwise3d_cuda_kernelIN3c104HalfEfLin1ELin1ELin1ELin1ELin1ELin1EEEvN5torch10headeronly6detail27GenericPackedTensorAccessorINS7_14TensorAccessorINS3_8ArrayRefIlEEKT_Lm4ENS6_16DefaultPtrTraitsEiEENS_6detail16IndexBoundsCheckILm5EiEESD_Lm5ESE_iEENS8_INS9_ISB_SC_Lm4ESE_iEESI_SC_Lm5ESE_iEESJ_PSD_iiiiiiiii
		.amdhsa_group_segment_fixed_size 0
		.amdhsa_private_segment_fixed_size 0
		.amdhsa_kernarg_size 448
		.amdhsa_user_sgpr_count 15
		.amdhsa_user_sgpr_dispatch_ptr 0
		.amdhsa_user_sgpr_queue_ptr 0
		.amdhsa_user_sgpr_kernarg_segment_ptr 1
		.amdhsa_user_sgpr_dispatch_id 0
		.amdhsa_user_sgpr_private_segment_size 0
		.amdhsa_wavefront_size32 1
		.amdhsa_uses_dynamic_stack 0
		.amdhsa_enable_private_segment 0
		.amdhsa_system_sgpr_workgroup_id_x 1
		.amdhsa_system_sgpr_workgroup_id_y 0
		.amdhsa_system_sgpr_workgroup_id_z 0
		.amdhsa_system_sgpr_workgroup_info 0
		.amdhsa_system_vgpr_workitem_id 0
		.amdhsa_next_free_vgpr 30
		.amdhsa_next_free_sgpr 71
		.amdhsa_reserve_vcc 1
		.amdhsa_float_round_mode_32 0
		.amdhsa_float_round_mode_16_64 0
		.amdhsa_float_denorm_mode_32 3
		.amdhsa_float_denorm_mode_16_64 3
		.amdhsa_dx10_clamp 1
		.amdhsa_ieee_mode 1
		.amdhsa_fp16_overflow 0
		.amdhsa_workgroup_processor_mode 1
		.amdhsa_memory_ordered 1
		.amdhsa_forward_progress 0
		.amdhsa_shared_vgpr_count 0
		.amdhsa_exception_fp_ieee_invalid_op 0
		.amdhsa_exception_fp_denorm_src 0
		.amdhsa_exception_fp_ieee_div_zero 0
		.amdhsa_exception_fp_ieee_overflow 0
		.amdhsa_exception_fp_ieee_underflow 0
		.amdhsa_exception_fp_ieee_inexact 0
		.amdhsa_exception_int_div_zero 0
	.end_amdhsa_kernel
	.section	.text._ZN2at6native12_GLOBAL__N_128conv_depthwise3d_cuda_kernelIN3c104HalfEfLin1ELin1ELin1ELin1ELin1ELin1EEEvN5torch10headeronly6detail27GenericPackedTensorAccessorINS7_14TensorAccessorINS3_8ArrayRefIlEEKT_Lm4ENS6_16DefaultPtrTraitsEiEENS_6detail16IndexBoundsCheckILm5EiEESD_Lm5ESE_iEENS8_INS9_ISB_SC_Lm4ESE_iEESI_SC_Lm5ESE_iEESJ_PSD_iiiiiiiii,"axG",@progbits,_ZN2at6native12_GLOBAL__N_128conv_depthwise3d_cuda_kernelIN3c104HalfEfLin1ELin1ELin1ELin1ELin1ELin1EEEvN5torch10headeronly6detail27GenericPackedTensorAccessorINS7_14TensorAccessorINS3_8ArrayRefIlEEKT_Lm4ENS6_16DefaultPtrTraitsEiEENS_6detail16IndexBoundsCheckILm5EiEESD_Lm5ESE_iEENS8_INS9_ISB_SC_Lm4ESE_iEESI_SC_Lm5ESE_iEESJ_PSD_iiiiiiiii,comdat
.Lfunc_end8:
	.size	_ZN2at6native12_GLOBAL__N_128conv_depthwise3d_cuda_kernelIN3c104HalfEfLin1ELin1ELin1ELin1ELin1ELin1EEEvN5torch10headeronly6detail27GenericPackedTensorAccessorINS7_14TensorAccessorINS3_8ArrayRefIlEEKT_Lm4ENS6_16DefaultPtrTraitsEiEENS_6detail16IndexBoundsCheckILm5EiEESD_Lm5ESE_iEENS8_INS9_ISB_SC_Lm4ESE_iEESI_SC_Lm5ESE_iEESJ_PSD_iiiiiiiii, .Lfunc_end8-_ZN2at6native12_GLOBAL__N_128conv_depthwise3d_cuda_kernelIN3c104HalfEfLin1ELin1ELin1ELin1ELin1ELin1EEEvN5torch10headeronly6detail27GenericPackedTensorAccessorINS7_14TensorAccessorINS3_8ArrayRefIlEEKT_Lm4ENS6_16DefaultPtrTraitsEiEENS_6detail16IndexBoundsCheckILm5EiEESD_Lm5ESE_iEENS8_INS9_ISB_SC_Lm4ESE_iEESI_SC_Lm5ESE_iEESJ_PSD_iiiiiiiii
                                        ; -- End function
	.section	.AMDGPU.csdata,"",@progbits
; Kernel info:
; codeLenInByte = 2144
; NumSgprs: 73
; NumVgprs: 30
; ScratchSize: 0
; MemoryBound: 0
; FloatMode: 240
; IeeeMode: 1
; LDSByteSize: 0 bytes/workgroup (compile time only)
; SGPRBlocks: 9
; VGPRBlocks: 3
; NumSGPRsForWavesPerEU: 73
; NumVGPRsForWavesPerEU: 30
; Occupancy: 16
; WaveLimiterHint : 0
; COMPUTE_PGM_RSRC2:SCRATCH_EN: 0
; COMPUTE_PGM_RSRC2:USER_SGPR: 15
; COMPUTE_PGM_RSRC2:TRAP_HANDLER: 0
; COMPUTE_PGM_RSRC2:TGID_X_EN: 1
; COMPUTE_PGM_RSRC2:TGID_Y_EN: 0
; COMPUTE_PGM_RSRC2:TGID_Z_EN: 0
; COMPUTE_PGM_RSRC2:TIDIG_COMP_CNT: 0
	.section	.text._ZN2at6native12_GLOBAL__N_128conv_depthwise3d_cuda_kernelIN3c108BFloat16EfLi3ELi3ELi3ELi1ELi1ELi1EEEvN5torch10headeronly6detail27GenericPackedTensorAccessorINS7_14TensorAccessorINS3_8ArrayRefIlEEKT_Lm4ENS6_16DefaultPtrTraitsEiEENS_6detail16IndexBoundsCheckILm5EiEESD_Lm5ESE_iEENS8_INS9_ISB_SC_Lm4ESE_iEESI_SC_Lm5ESE_iEESJ_PSD_iiiiiiiii,"axG",@progbits,_ZN2at6native12_GLOBAL__N_128conv_depthwise3d_cuda_kernelIN3c108BFloat16EfLi3ELi3ELi3ELi1ELi1ELi1EEEvN5torch10headeronly6detail27GenericPackedTensorAccessorINS7_14TensorAccessorINS3_8ArrayRefIlEEKT_Lm4ENS6_16DefaultPtrTraitsEiEENS_6detail16IndexBoundsCheckILm5EiEESD_Lm5ESE_iEENS8_INS9_ISB_SC_Lm4ESE_iEESI_SC_Lm5ESE_iEESJ_PSD_iiiiiiiii,comdat
	.globl	_ZN2at6native12_GLOBAL__N_128conv_depthwise3d_cuda_kernelIN3c108BFloat16EfLi3ELi3ELi3ELi1ELi1ELi1EEEvN5torch10headeronly6detail27GenericPackedTensorAccessorINS7_14TensorAccessorINS3_8ArrayRefIlEEKT_Lm4ENS6_16DefaultPtrTraitsEiEENS_6detail16IndexBoundsCheckILm5EiEESD_Lm5ESE_iEENS8_INS9_ISB_SC_Lm4ESE_iEESI_SC_Lm5ESE_iEESJ_PSD_iiiiiiiii ; -- Begin function _ZN2at6native12_GLOBAL__N_128conv_depthwise3d_cuda_kernelIN3c108BFloat16EfLi3ELi3ELi3ELi1ELi1ELi1EEEvN5torch10headeronly6detail27GenericPackedTensorAccessorINS7_14TensorAccessorINS3_8ArrayRefIlEEKT_Lm4ENS6_16DefaultPtrTraitsEiEENS_6detail16IndexBoundsCheckILm5EiEESD_Lm5ESE_iEENS8_INS9_ISB_SC_Lm4ESE_iEESI_SC_Lm5ESE_iEESJ_PSD_iiiiiiiii
	.p2align	8
	.type	_ZN2at6native12_GLOBAL__N_128conv_depthwise3d_cuda_kernelIN3c108BFloat16EfLi3ELi3ELi3ELi1ELi1ELi1EEEvN5torch10headeronly6detail27GenericPackedTensorAccessorINS7_14TensorAccessorINS3_8ArrayRefIlEEKT_Lm4ENS6_16DefaultPtrTraitsEiEENS_6detail16IndexBoundsCheckILm5EiEESD_Lm5ESE_iEENS8_INS9_ISB_SC_Lm4ESE_iEESI_SC_Lm5ESE_iEESJ_PSD_iiiiiiiii,@function
_ZN2at6native12_GLOBAL__N_128conv_depthwise3d_cuda_kernelIN3c108BFloat16EfLi3ELi3ELi3ELi1ELi1ELi1EEEvN5torch10headeronly6detail27GenericPackedTensorAccessorINS7_14TensorAccessorINS3_8ArrayRefIlEEKT_Lm4ENS6_16DefaultPtrTraitsEiEENS_6detail16IndexBoundsCheckILm5EiEESD_Lm5ESE_iEENS8_INS9_ISB_SC_Lm4ESE_iEESI_SC_Lm5ESE_iEESJ_PSD_iiiiiiiii: ; @_ZN2at6native12_GLOBAL__N_128conv_depthwise3d_cuda_kernelIN3c108BFloat16EfLi3ELi3ELi3ELi1ELi1ELi1EEEvN5torch10headeronly6detail27GenericPackedTensorAccessorINS7_14TensorAccessorINS3_8ArrayRefIlEEKT_Lm4ENS6_16DefaultPtrTraitsEiEENS_6detail16IndexBoundsCheckILm5EiEESD_Lm5ESE_iEENS8_INS9_ISB_SC_Lm4ESE_iEESI_SC_Lm5ESE_iEESJ_PSD_iiiiiiiii
; %bb.0:
	s_clause 0x3
	s_load_b128 s[16:19], s[0:1], 0xc
	s_load_b64 s[34:35], s[0:1], 0x48
	s_load_b32 s3, s[0:1], 0xcc
	s_load_b128 s[20:23], s[0:1], 0x38
	v_mov_b32_e32 v7, 0
	s_mov_b32 s7, exec_lo
	s_waitcnt lgkmcnt(0)
	s_abs_i32 s2, s16
	s_add_u32 s4, s0, 0xc0
	v_cvt_f32_u32_e32 v1, s2
	s_addc_u32 s5, s1, 0
	s_and_b32 s6, s3, 0xffff
	s_mul_i32 s14, s35, s20
	s_mul_i32 s33, s6, s15
	v_rcp_iflag_f32_e32 v1, v1
	s_mul_hi_u32 s20, s6, s15
	s_ashr_i32 s15, s14, 31
	s_waitcnt_depctr 0xfff
	v_mul_f32_e32 v3, 0x4f7ffffe, v1
	v_add_co_u32 v1, s3, s33, v0
	s_delay_alu instid0(VALU_DEP_1) | instskip(NEXT) | instid1(VALU_DEP_3)
	v_add_co_ci_u32_e64 v2, null, s20, 0, s3
	v_cvt_u32_f32_e32 v3, v3
	s_delay_alu instid0(VALU_DEP_1) | instskip(NEXT) | instid1(VALU_DEP_3)
	v_readfirstlane_b32 s3, v3
	v_cmpx_gt_i64_e64 s[14:15], v[1:2]
	s_cbranch_execz .LBB9_59
; %bb.1:
	s_sub_i32 s7, 0, s2
	s_abs_i32 s54, s21
	s_mul_i32 s7, s7, s3
	s_load_b64 s[40:41], s[0:1], 0x90
	s_mul_hi_u32 s7, s3, s7
	s_ashr_i32 s55, s21, 31
	s_add_i32 s3, s3, s7
	s_ashr_i32 s7, s16, 31
	s_load_b32 s16, s[0:1], 0x7c
	s_mul_hi_u32 s3, s54, s3
	s_xor_b32 s7, s55, s7
	s_mul_i32 s8, s3, s2
	s_add_i32 s9, s3, 1
	s_sub_i32 s8, s54, s8
	v_cvt_f32_u32_e32 v4, s54
	s_sub_i32 s10, s8, s2
	s_cmp_ge_u32 s8, s2
	s_clause 0x1
	s_load_b128 s[24:27], s[0:1], 0x98
	s_load_b64 s[42:43], s[0:1], 0xa8
	s_load_b32 s4, s[4:5], 0x0
	s_cselect_b32 s3, s9, s3
	s_cselect_b32 s8, s10, s8
	s_add_i32 s9, s3, 1
	s_cmp_ge_u32 s8, s2
	v_rcp_iflag_f32_e32 v4, v4
	s_cselect_b32 s2, s9, s3
	s_add_i32 s3, s18, -3
	s_xor_b32 s8, s2, s7
	s_mul_i32 s2, s19, s3
	s_sub_i32 s7, s8, s7
	s_ashr_i32 s3, s2, 31
	s_waitcnt lgkmcnt(0)
	s_cmp_lg_u64 s[40:41], 0
	s_clause 0x1
	s_load_b64 s[44:45], s[0:1], 0x0
	s_load_b128 s[28:31], s[0:1], 0x1c
	s_cselect_b32 s56, -1, 0
	s_abs_i32 s57, s34
	s_abs_i32 s59, s23
	v_cvt_f32_u32_e32 v1, s57
	v_cvt_f32_u32_e32 v2, s59
	s_abs_i32 s60, s22
	s_abs_i32 s61, s7
	v_cvt_f32_u32_e32 v3, s60
	v_rcp_iflag_f32_e32 v1, v1
	v_rcp_iflag_f32_e32 v2, v2
	v_cvt_f32_u32_e32 v5, s61
	s_sub_i32 s5, 0, s57
	v_rcp_iflag_f32_e32 v3, v3
	s_clause 0x3
	s_load_b32 s62, s[0:1], 0x2c
	s_load_b64 s[46:47], s[0:1], 0x30
	s_load_b64 s[48:49], s[0:1], 0x60
	s_load_b128 s[36:39], s[0:1], 0x50
	v_rcp_iflag_f32_e32 v5, v5
	s_sub_i32 s0, 0, s59
	v_dual_mul_f32 v4, 0x4f7ffffe, v4 :: v_dual_mul_f32 v1, 0x4f7ffffe, v1
	v_mul_f32_e32 v2, 0x4f7ffffe, v2
	s_sub_i32 s1, 0, s61
	s_mov_b32 s58, 0
	s_waitcnt_depctr 0xfff
	v_mul_f32_e32 v3, 0x4f7ffffe, v3
	v_cvt_u32_f32_e32 v1, v1
	v_cvt_u32_f32_e32 v2, v2
	;; [unrolled: 1-line block ×3, first 2 shown]
	s_mul_i32 s63, s4, s6
	v_cvt_u32_f32_e32 v3, v3
	v_mul_lo_u32 v6, s5, v1
	v_mul_lo_u32 v8, s0, v2
	s_sub_i32 s0, 0, s60
	s_ashr_i32 s64, s34, 31
	v_mul_lo_u32 v9, s0, v3
	s_sub_i32 s0, 0, s54
	s_ashr_i32 s65, s23, 31
	v_mul_lo_u32 v10, s0, v4
	v_mul_hi_u32 v6, v1, v6
	v_mul_f32_e32 v5, 0x4f7ffffe, v5
	v_mul_hi_u32 v12, v2, v8
	s_mov_b32 s0, s19
	v_mul_hi_u32 v13, v3, v9
	s_ashr_i32 s66, s22, 31
	s_ashr_i32 s67, s7, 31
	v_mul_hi_u32 v14, v4, v10
	v_add_nc_u32_e32 v8, v1, v6
	v_cvt_u32_f32_e32 v5, v5
	v_add_nc_u32_e32 v9, v2, v12
	s_lshl_b64 s[52:53], s[2:3], 1
	v_add_nc_u32_e32 v10, v3, v13
	s_delay_alu instid0(VALU_DEP_3) | instskip(SKIP_1) | instid1(SALU_CYCLE_1)
	v_mul_lo_u32 v11, s1, v5
	s_ashr_i32 s1, s19, 31
	s_lshl_b64 s[50:51], s[0:1], 1
	s_delay_alu instid0(VALU_DEP_1) | instskip(SKIP_1) | instid1(VALU_DEP_2)
	v_mul_hi_u32 v15, v5, v11
	v_add_nc_u32_e32 v11, v4, v14
	v_add_nc_u32_e32 v12, v5, v15
	s_branch .LBB9_3
.LBB9_2:                                ;   in Loop: Header=BB9_3 Depth=1
	v_mul_lo_u32 v2, v14, s35
	v_mul_lo_u32 v4, s36, v1
	;; [unrolled: 1-line block ×3, first 2 shown]
	v_bfe_u32 v5, v17, 16, 1
	v_mul_lo_u32 v1, s38, v15
	v_mul_lo_u32 v13, s39, v13
	s_delay_alu instid0(VALU_DEP_3) | instskip(SKIP_3) | instid1(VALU_DEP_4)
	v_add3_u32 v6, v17, v5, 0x7fff
	v_ashrrev_i32_e32 v3, 31, v2
	v_ashrrev_i32_e32 v5, 31, v4
	v_ashrrev_i32_e32 v15, 31, v14
	v_lshrrev_b32_e32 v16, 16, v6
	s_delay_alu instid0(VALU_DEP_4) | instskip(NEXT) | instid1(VALU_DEP_4)
	v_lshlrev_b64 v[18:19], 1, v[2:3]
	v_lshlrev_b64 v[3:4], 1, v[4:5]
	s_delay_alu instid0(VALU_DEP_4) | instskip(SKIP_1) | instid1(VALU_DEP_4)
	v_lshlrev_b64 v[5:6], 1, v[14:15]
	v_ashrrev_i32_e32 v2, 31, v1
	v_add_co_u32 v14, vcc_lo, s46, v18
	v_add_co_ci_u32_e32 v15, vcc_lo, s47, v19, vcc_lo
	s_delay_alu instid0(VALU_DEP_3) | instskip(NEXT) | instid1(VALU_DEP_3)
	v_lshlrev_b64 v[1:2], 1, v[1:2]
	v_add_co_u32 v3, vcc_lo, v14, v3
	s_delay_alu instid0(VALU_DEP_3)
	v_add_co_ci_u32_e32 v4, vcc_lo, v15, v4, vcc_lo
	v_cmp_o_f32_e32 vcc_lo, v17, v17
	v_ashrrev_i32_e32 v14, 31, v13
	v_cndmask_b32_e32 v15, 0x7fc0, v16, vcc_lo
	v_add_co_u32 v16, vcc_lo, v3, v5
	v_add_co_ci_u32_e32 v17, vcc_lo, v4, v6, vcc_lo
	v_add_co_u32 v0, vcc_lo, v0, s63
	v_add_co_ci_u32_e32 v7, vcc_lo, 0, v7, vcc_lo
	v_lshlrev_b64 v[3:4], 1, v[13:14]
	s_delay_alu instid0(VALU_DEP_3) | instskip(NEXT) | instid1(VALU_DEP_3)
	v_add_co_u32 v5, vcc_lo, s33, v0
	v_add_co_ci_u32_e32 v6, vcc_lo, s20, v7, vcc_lo
	v_add_co_u32 v1, vcc_lo, v16, v1
	v_add_co_ci_u32_e32 v2, vcc_lo, v17, v2, vcc_lo
	s_delay_alu instid0(VALU_DEP_3) | instskip(NEXT) | instid1(VALU_DEP_3)
	v_cmp_le_i64_e32 vcc_lo, s[14:15], v[5:6]
	v_add_co_u32 v1, s0, v1, v3
	s_delay_alu instid0(VALU_DEP_1)
	v_add_co_ci_u32_e64 v2, s0, v2, v4, s0
	s_or_b32 s58, vcc_lo, s58
	global_store_b16 v[1:2], v15, off
	s_and_not1_b32 exec_lo, exec_lo, s58
	s_cbranch_execz .LBB9_59
.LBB9_3:                                ; =>This Inner Loop Header: Depth=1
	v_add_nc_u32_e32 v2, s33, v0
	s_delay_alu instid0(VALU_DEP_1) | instskip(NEXT) | instid1(VALU_DEP_1)
	v_sub_nc_u32_e32 v1, 0, v2
	v_max_i32_e32 v1, v2, v1
	s_delay_alu instid0(VALU_DEP_1) | instskip(NEXT) | instid1(VALU_DEP_1)
	v_mul_hi_u32 v3, v1, v8
	v_mul_lo_u32 v4, v3, s57
	s_delay_alu instid0(VALU_DEP_1) | instskip(SKIP_1) | instid1(VALU_DEP_2)
	v_sub_nc_u32_e32 v1, v1, v4
	v_add_nc_u32_e32 v4, 1, v3
	v_subrev_nc_u32_e32 v5, s57, v1
	v_cmp_le_u32_e32 vcc_lo, s57, v1
	s_delay_alu instid0(VALU_DEP_3) | instskip(NEXT) | instid1(VALU_DEP_3)
	v_cndmask_b32_e32 v3, v3, v4, vcc_lo
	v_cndmask_b32_e32 v1, v1, v5, vcc_lo
	v_ashrrev_i32_e32 v4, 31, v2
	s_delay_alu instid0(VALU_DEP_3) | instskip(NEXT) | instid1(VALU_DEP_3)
	v_add_nc_u32_e32 v5, 1, v3
	v_cmp_le_u32_e32 vcc_lo, s57, v1
	s_delay_alu instid0(VALU_DEP_3) | instskip(NEXT) | instid1(VALU_DEP_3)
	v_xor_b32_e32 v4, s64, v4
	v_cndmask_b32_e32 v1, v3, v5, vcc_lo
	s_delay_alu instid0(VALU_DEP_1) | instskip(NEXT) | instid1(VALU_DEP_1)
	v_xor_b32_e32 v1, v1, v4
	v_sub_nc_u32_e32 v3, v1, v4
	s_delay_alu instid0(VALU_DEP_1) | instskip(NEXT) | instid1(VALU_DEP_1)
	v_sub_nc_u32_e32 v1, 0, v3
	v_max_i32_e32 v1, v3, v1
	s_delay_alu instid0(VALU_DEP_1) | instskip(NEXT) | instid1(VALU_DEP_1)
	v_mul_hi_u32 v4, v1, v9
	v_mul_lo_u32 v5, v4, s59
	s_delay_alu instid0(VALU_DEP_1) | instskip(SKIP_1) | instid1(VALU_DEP_2)
	v_sub_nc_u32_e32 v1, v1, v5
	v_add_nc_u32_e32 v5, 1, v4
	v_subrev_nc_u32_e32 v6, s59, v1
	v_cmp_le_u32_e32 vcc_lo, s59, v1
	s_delay_alu instid0(VALU_DEP_2) | instskip(SKIP_1) | instid1(VALU_DEP_2)
	v_dual_cndmask_b32 v4, v4, v5 :: v_dual_cndmask_b32 v1, v1, v6
	v_ashrrev_i32_e32 v5, 31, v3
	v_add_nc_u32_e32 v6, 1, v4
	s_delay_alu instid0(VALU_DEP_3) | instskip(NEXT) | instid1(VALU_DEP_3)
	v_cmp_le_u32_e32 vcc_lo, s59, v1
	v_xor_b32_e32 v5, s65, v5
	s_delay_alu instid0(VALU_DEP_3) | instskip(NEXT) | instid1(VALU_DEP_1)
	v_cndmask_b32_e32 v1, v4, v6, vcc_lo
	v_xor_b32_e32 v1, v1, v5
	s_delay_alu instid0(VALU_DEP_1) | instskip(NEXT) | instid1(VALU_DEP_1)
	v_sub_nc_u32_e32 v4, v1, v5
	v_sub_nc_u32_e32 v1, 0, v4
	s_delay_alu instid0(VALU_DEP_1) | instskip(NEXT) | instid1(VALU_DEP_1)
	v_max_i32_e32 v1, v4, v1
	v_mul_hi_u32 v5, v1, v10
	s_delay_alu instid0(VALU_DEP_1) | instskip(NEXT) | instid1(VALU_DEP_1)
	v_mul_lo_u32 v6, v5, s60
	v_sub_nc_u32_e32 v1, v1, v6
	v_add_nc_u32_e32 v6, 1, v5
	s_delay_alu instid0(VALU_DEP_2) | instskip(SKIP_1) | instid1(VALU_DEP_3)
	v_subrev_nc_u32_e32 v13, s60, v1
	v_cmp_le_u32_e32 vcc_lo, s60, v1
	v_cndmask_b32_e32 v5, v5, v6, vcc_lo
	s_delay_alu instid0(VALU_DEP_3) | instskip(SKIP_1) | instid1(VALU_DEP_3)
	v_cndmask_b32_e32 v1, v1, v13, vcc_lo
	v_ashrrev_i32_e32 v6, 31, v4
	v_add_nc_u32_e32 v13, 1, v5
	s_delay_alu instid0(VALU_DEP_3) | instskip(NEXT) | instid1(VALU_DEP_3)
	v_cmp_le_u32_e32 vcc_lo, s60, v1
	v_xor_b32_e32 v6, s66, v6
	s_delay_alu instid0(VALU_DEP_3) | instskip(NEXT) | instid1(VALU_DEP_1)
	v_cndmask_b32_e32 v1, v5, v13, vcc_lo
	v_xor_b32_e32 v1, v1, v6
	s_delay_alu instid0(VALU_DEP_1) | instskip(NEXT) | instid1(VALU_DEP_1)
	v_sub_nc_u32_e32 v5, v1, v6
	v_sub_nc_u32_e32 v1, 0, v5
	s_delay_alu instid0(VALU_DEP_1) | instskip(NEXT) | instid1(VALU_DEP_1)
	v_max_i32_e32 v1, v5, v1
	v_mul_hi_u32 v6, v1, v11
	s_delay_alu instid0(VALU_DEP_1) | instskip(NEXT) | instid1(VALU_DEP_1)
	v_mul_lo_u32 v13, v6, s54
	v_sub_nc_u32_e32 v1, v1, v13
	v_add_nc_u32_e32 v13, 1, v6
	s_delay_alu instid0(VALU_DEP_2) | instskip(SKIP_1) | instid1(VALU_DEP_2)
	v_subrev_nc_u32_e32 v14, s54, v1
	v_cmp_le_u32_e32 vcc_lo, s54, v1
	v_dual_cndmask_b32 v6, v6, v13 :: v_dual_cndmask_b32 v1, v1, v14
	v_ashrrev_i32_e32 v13, 31, v5
	s_delay_alu instid0(VALU_DEP_2) | instskip(NEXT) | instid1(VALU_DEP_3)
	v_add_nc_u32_e32 v14, 1, v6
	v_cmp_le_u32_e32 vcc_lo, s54, v1
	s_delay_alu instid0(VALU_DEP_3) | instskip(NEXT) | instid1(VALU_DEP_3)
	v_xor_b32_e32 v13, s55, v13
	v_cndmask_b32_e32 v1, v6, v14, vcc_lo
	s_delay_alu instid0(VALU_DEP_1) | instskip(NEXT) | instid1(VALU_DEP_1)
	v_xor_b32_e32 v1, v1, v13
	v_sub_nc_u32_e32 v14, v1, v13
	v_mul_lo_u32 v13, v3, s34
	s_delay_alu instid0(VALU_DEP_2) | instskip(NEXT) | instid1(VALU_DEP_2)
	v_mul_lo_u32 v1, v14, s21
	v_sub_nc_u32_e32 v13, v2, v13
	v_mul_lo_u32 v2, v4, s23
	s_delay_alu instid0(VALU_DEP_3) | instskip(NEXT) | instid1(VALU_DEP_3)
	v_sub_nc_u32_e32 v1, v5, v1
	v_mul_lo_u32 v18, v13, s26
	v_mul_lo_u32 v5, v5, s22
	s_delay_alu instid0(VALU_DEP_3) | instskip(SKIP_3) | instid1(VALU_DEP_4)
	v_sub_nc_u32_e32 v6, 0, v1
	v_sub_nc_u32_e32 v15, v3, v2
	v_mul_lo_u32 v27, s16, v1
	v_subrev_nc_u32_e32 v20, s43, v18
	v_max_i32_e32 v6, v1, v6
	s_waitcnt lgkmcnt(0)
	s_delay_alu instid0(VALU_DEP_2) | instskip(NEXT) | instid1(VALU_DEP_2)
	v_mul_lo_u32 v3, s62, v20
	v_mul_hi_u32 v16, v6, v12
	v_cmp_lt_i32_e64 s0, -1, v20
	s_delay_alu instid0(VALU_DEP_2) | instskip(SKIP_1) | instid1(VALU_DEP_2)
	v_mul_lo_u32 v17, v16, s61
	v_add_nc_u32_e32 v2, 1, v16
	v_sub_nc_u32_e32 v6, v6, v17
	v_mul_lo_u32 v17, v15, s25
	s_delay_alu instid0(VALU_DEP_2) | instskip(SKIP_1) | instid1(VALU_DEP_3)
	v_subrev_nc_u32_e32 v18, s61, v6
	v_cmp_le_u32_e32 vcc_lo, s61, v6
	v_subrev_nc_u32_e32 v19, s42, v17
	v_cndmask_b32_e32 v21, v16, v2, vcc_lo
	s_delay_alu instid0(VALU_DEP_4)
	v_cndmask_b32_e32 v6, v6, v18, vcc_lo
	v_ashrrev_i32_e32 v2, 31, v1
	v_sub_nc_u32_e32 v16, v4, v5
	v_ashrrev_i32_e32 v4, 31, v3
	v_add_nc_u32_e32 v18, 1, v21
	v_cmp_le_u32_e32 vcc_lo, s61, v6
	v_xor_b32_e32 v17, s67, v2
	v_cmp_lt_i32_e64 s7, -1, v19
	v_mul_lo_u32 v5, s31, v19
	v_cmp_gt_i32_e64 s5, s18, v19
	v_cndmask_b32_e32 v6, v21, v18, vcc_lo
	v_mul_lo_u32 v18, v16, s24
	v_lshlrev_b64 v[21:22], 1, v[3:4]
	v_mul_lo_u32 v3, s28, v14
	v_cmp_gt_i32_e32 vcc_lo, s19, v20
	v_xor_b32_e32 v6, v6, v17
	v_subrev_nc_u32_e32 v18, s27, v18
	s_delay_alu instid0(VALU_DEP_2) | instskip(SKIP_1) | instid1(VALU_DEP_3)
	v_sub_nc_u32_e32 v4, v6, v17
	v_ashrrev_i32_e32 v6, 31, v5
	v_cmp_lt_i32_e64 s8, -1, v18
	s_delay_alu instid0(VALU_DEP_3)
	v_mul_lo_u32 v23, s29, v4
	v_ashrrev_i32_e32 v4, 31, v3
	v_mul_lo_u32 v25, s30, v18
	v_cmp_gt_i32_e64 s11, s17, v18
	s_and_b32 s4, s8, s7
	v_lshlrev_b64 v[5:6], 1, v[5:6]
	v_lshlrev_b64 v[3:4], 1, v[3:4]
	s_and_b32 s1, s4, s0
	v_ashrrev_i32_e32 v24, 31, v23
	s_and_b32 s2, s1, s11
	v_ashrrev_i32_e32 v26, 31, v25
	s_delay_alu instid0(VALU_DEP_3) | instskip(NEXT) | instid1(VALU_DEP_3)
	v_add_co_u32 v17, s1, s44, v3
	v_lshlrev_b64 v[23:24], 1, v[23:24]
	v_add_co_ci_u32_e64 v28, s1, s45, v4, s1
	s_delay_alu instid0(VALU_DEP_4) | instskip(NEXT) | instid1(VALU_DEP_3)
	v_lshlrev_b64 v[3:4], 1, v[25:26]
	v_add_co_u32 v17, s1, v17, v23
	s_delay_alu instid0(VALU_DEP_1) | instskip(SKIP_1) | instid1(VALU_DEP_3)
	v_add_co_ci_u32_e64 v23, s1, v28, v24, s1
	v_ashrrev_i32_e32 v28, 31, v27
	v_add_co_u32 v17, s1, v17, v3
	s_delay_alu instid0(VALU_DEP_1) | instskip(NEXT) | instid1(VALU_DEP_3)
	v_add_co_ci_u32_e64 v23, s1, v23, v4, s1
	v_lshlrev_b64 v[3:4], 1, v[27:28]
	s_delay_alu instid0(VALU_DEP_3) | instskip(NEXT) | instid1(VALU_DEP_1)
	v_add_co_u32 v5, s1, v17, v5
	v_add_co_ci_u32_e64 v6, s1, v23, v6, s1
	v_mov_b32_e32 v17, 0
	s_delay_alu instid0(VALU_DEP_4) | instskip(NEXT) | instid1(VALU_DEP_1)
	v_add_co_u32 v3, s1, s48, v3
	v_add_co_ci_u32_e64 v4, s1, s49, v4, s1
	v_add_co_u32 v5, s1, v5, v21
	s_delay_alu instid0(VALU_DEP_1) | instskip(SKIP_1) | instid1(SALU_CYCLE_1)
	v_add_co_ci_u32_e64 v6, s1, v6, v22, s1
	s_and_b32 s1, s2, s5
	s_and_b32 s2, s1, vcc_lo
	s_delay_alu instid0(SALU_CYCLE_1)
	s_and_saveexec_b32 s1, s2
	s_cbranch_execz .LBB9_5
; %bb.4:                                ;   in Loop: Header=BB9_3 Depth=1
	global_load_u16 v17, v[5:6], off
	global_load_u16 v21, v[3:4], off
	s_waitcnt vmcnt(1)
	v_lshlrev_b32_e32 v17, 16, v17
	s_waitcnt vmcnt(0)
	v_lshlrev_b32_e32 v21, 16, v21
	s_delay_alu instid0(VALU_DEP_1)
	v_fma_f32 v17, v21, v17, 0
.LBB9_5:                                ;   in Loop: Header=BB9_3 Depth=1
	s_or_b32 exec_lo, exec_lo, s1
	v_cmp_lt_i32_e64 s1, -2, v20
	v_add_nc_u32_e32 v21, 1, v20
	s_delay_alu instid0(VALU_DEP_2) | instskip(NEXT) | instid1(VALU_DEP_1)
	s_and_b32 s3, s4, s1
	v_cmp_gt_i32_e64 s2, s19, v21
	s_and_b32 s3, s3, s11
	s_delay_alu instid0(SALU_CYCLE_1)
	s_and_b32 s3, s3, s5
	s_delay_alu instid0(VALU_DEP_1) | instid1(SALU_CYCLE_1)
	s_and_b32 s6, s3, s2
	s_delay_alu instid0(SALU_CYCLE_1)
	s_and_saveexec_b32 s3, s6
	s_cbranch_execz .LBB9_7
; %bb.6:                                ;   in Loop: Header=BB9_3 Depth=1
	global_load_u16 v21, v[5:6], off offset:2
	global_load_u16 v22, v[3:4], off offset:2
	s_waitcnt vmcnt(1)
	v_lshlrev_b32_e32 v21, 16, v21
	s_waitcnt vmcnt(0)
	v_lshlrev_b32_e32 v22, 16, v22
	s_delay_alu instid0(VALU_DEP_1)
	v_fmac_f32_e32 v17, v22, v21
.LBB9_7:                                ;   in Loop: Header=BB9_3 Depth=1
	s_or_b32 exec_lo, exec_lo, s3
	v_cmp_lt_i32_e64 s3, -3, v20
	v_add_nc_u32_e32 v20, 2, v20
	s_delay_alu instid0(VALU_DEP_2) | instskip(NEXT) | instid1(VALU_DEP_1)
	s_and_b32 s6, s4, s3
	v_cmp_gt_i32_e64 s4, s19, v20
	s_and_b32 s6, s6, s11
	s_delay_alu instid0(SALU_CYCLE_1)
	s_and_b32 s6, s6, s5
	s_delay_alu instid0(VALU_DEP_1) | instid1(SALU_CYCLE_1)
	s_and_b32 s9, s6, s4
	s_delay_alu instid0(SALU_CYCLE_1)
	s_and_saveexec_b32 s6, s9
	s_cbranch_execz .LBB9_9
; %bb.8:                                ;   in Loop: Header=BB9_3 Depth=1
	global_load_u16 v20, v[5:6], off offset:4
	global_load_u16 v21, v[3:4], off offset:4
	s_waitcnt vmcnt(1)
	v_lshlrev_b32_e32 v20, 16, v20
	s_waitcnt vmcnt(0)
	v_lshlrev_b32_e32 v21, 16, v21
	s_delay_alu instid0(VALU_DEP_1)
	v_fmac_f32_e32 v17, v21, v20
.LBB9_9:                                ;   in Loop: Header=BB9_3 Depth=1
	s_or_b32 exec_lo, exec_lo, s6
	v_cmp_lt_i32_e64 s9, -2, v19
	v_add_nc_u32_e32 v20, 1, v19
	s_delay_alu instid0(VALU_DEP_2) | instskip(NEXT) | instid1(VALU_DEP_1)
	s_and_b32 s12, s8, s9
	v_cmp_gt_i32_e64 s6, s18, v20
	s_and_b32 s10, s12, s0
	s_delay_alu instid0(SALU_CYCLE_1) | instskip(SKIP_1) | instid1(VALU_DEP_1)
	s_and_b32 s13, s10, s11
	v_add_co_u32 v5, s10, v5, s50
	v_add_co_ci_u32_e64 v6, s10, s51, v6, s10
	s_and_b32 s10, s13, s6
	s_delay_alu instid0(SALU_CYCLE_1) | instskip(NEXT) | instid1(SALU_CYCLE_1)
	s_and_b32 s13, s10, vcc_lo
	s_and_saveexec_b32 s10, s13
	s_cbranch_execz .LBB9_11
; %bb.10:                               ;   in Loop: Header=BB9_3 Depth=1
	global_load_u16 v20, v[5:6], off
	global_load_u16 v21, v[3:4], off offset:6
	s_waitcnt vmcnt(1)
	v_lshlrev_b32_e32 v20, 16, v20
	s_waitcnt vmcnt(0)
	v_lshlrev_b32_e32 v21, 16, v21
	s_delay_alu instid0(VALU_DEP_1)
	v_fmac_f32_e32 v17, v21, v20
.LBB9_11:                               ;   in Loop: Header=BB9_3 Depth=1
	s_or_b32 exec_lo, exec_lo, s10
	s_and_b32 s10, s12, s1
	s_delay_alu instid0(SALU_CYCLE_1) | instskip(NEXT) | instid1(SALU_CYCLE_1)
	s_and_b32 s10, s10, s11
	s_and_b32 s10, s10, s6
	s_delay_alu instid0(SALU_CYCLE_1) | instskip(NEXT) | instid1(SALU_CYCLE_1)
	s_and_b32 s13, s10, s2
	s_and_saveexec_b32 s10, s13
	s_cbranch_execz .LBB9_13
; %bb.12:                               ;   in Loop: Header=BB9_3 Depth=1
	global_load_u16 v20, v[5:6], off offset:2
	global_load_u16 v21, v[3:4], off offset:8
	s_waitcnt vmcnt(1)
	v_lshlrev_b32_e32 v20, 16, v20
	s_waitcnt vmcnt(0)
	v_lshlrev_b32_e32 v21, 16, v21
	s_delay_alu instid0(VALU_DEP_1)
	v_fmac_f32_e32 v17, v21, v20
.LBB9_13:                               ;   in Loop: Header=BB9_3 Depth=1
	s_or_b32 exec_lo, exec_lo, s10
	s_and_b32 s10, s12, s3
	s_delay_alu instid0(SALU_CYCLE_1) | instskip(NEXT) | instid1(SALU_CYCLE_1)
	s_and_b32 s10, s10, s11
	s_and_b32 s10, s10, s6
	s_delay_alu instid0(SALU_CYCLE_1) | instskip(NEXT) | instid1(SALU_CYCLE_1)
	s_and_b32 s12, s10, s4
	s_and_saveexec_b32 s10, s12
	s_cbranch_execz .LBB9_15
; %bb.14:                               ;   in Loop: Header=BB9_3 Depth=1
	global_load_u16 v20, v[5:6], off offset:4
	global_load_u16 v21, v[3:4], off offset:10
	s_waitcnt vmcnt(1)
	v_lshlrev_b32_e32 v20, 16, v20
	s_waitcnt vmcnt(0)
	v_lshlrev_b32_e32 v21, 16, v21
	s_delay_alu instid0(VALU_DEP_1)
	v_fmac_f32_e32 v17, v21, v20
.LBB9_15:                               ;   in Loop: Header=BB9_3 Depth=1
	s_or_b32 exec_lo, exec_lo, s10
	v_cmp_lt_i32_e64 s10, -3, v19
	v_add_nc_u32_e32 v19, 2, v19
	s_delay_alu instid0(VALU_DEP_2) | instskip(NEXT) | instid1(VALU_DEP_1)
	s_and_b32 s13, s8, s10
	v_cmp_gt_i32_e64 s8, s18, v19
	s_and_b32 s12, s13, s0
	s_delay_alu instid0(SALU_CYCLE_1) | instskip(SKIP_1) | instid1(VALU_DEP_1)
	s_and_b32 s68, s12, s11
	v_add_co_u32 v5, s12, v5, s50
	v_add_co_ci_u32_e64 v6, s12, s51, v6, s12
	s_and_b32 s12, s68, s8
	s_delay_alu instid0(SALU_CYCLE_1) | instskip(NEXT) | instid1(SALU_CYCLE_1)
	s_and_b32 s68, s12, vcc_lo
	s_and_saveexec_b32 s12, s68
	s_cbranch_execz .LBB9_17
; %bb.16:                               ;   in Loop: Header=BB9_3 Depth=1
	global_load_u16 v19, v[5:6], off
	global_load_u16 v20, v[3:4], off offset:12
	s_waitcnt vmcnt(1)
	v_lshlrev_b32_e32 v19, 16, v19
	s_waitcnt vmcnt(0)
	v_lshlrev_b32_e32 v20, 16, v20
	s_delay_alu instid0(VALU_DEP_1)
	v_fmac_f32_e32 v17, v20, v19
.LBB9_17:                               ;   in Loop: Header=BB9_3 Depth=1
	s_or_b32 exec_lo, exec_lo, s12
	s_and_b32 s12, s13, s1
	s_delay_alu instid0(SALU_CYCLE_1) | instskip(NEXT) | instid1(SALU_CYCLE_1)
	s_and_b32 s12, s12, s11
	s_and_b32 s12, s12, s8
	s_delay_alu instid0(SALU_CYCLE_1) | instskip(NEXT) | instid1(SALU_CYCLE_1)
	s_and_b32 s68, s12, s2
	s_and_saveexec_b32 s12, s68
	s_cbranch_execz .LBB9_19
; %bb.18:                               ;   in Loop: Header=BB9_3 Depth=1
	global_load_u16 v19, v[5:6], off offset:2
	global_load_u16 v20, v[3:4], off offset:14
	s_waitcnt vmcnt(1)
	v_lshlrev_b32_e32 v19, 16, v19
	s_waitcnt vmcnt(0)
	v_lshlrev_b32_e32 v20, 16, v20
	s_delay_alu instid0(VALU_DEP_1)
	v_fmac_f32_e32 v17, v20, v19
.LBB9_19:                               ;   in Loop: Header=BB9_3 Depth=1
	s_or_b32 exec_lo, exec_lo, s12
	s_and_b32 s12, s13, s3
	s_delay_alu instid0(SALU_CYCLE_1) | instskip(NEXT) | instid1(SALU_CYCLE_1)
	s_and_b32 s11, s12, s11
	s_and_b32 s11, s11, s8
	s_delay_alu instid0(SALU_CYCLE_1) | instskip(NEXT) | instid1(SALU_CYCLE_1)
	s_and_b32 s12, s11, s4
	s_and_saveexec_b32 s11, s12
	s_cbranch_execz .LBB9_21
; %bb.20:                               ;   in Loop: Header=BB9_3 Depth=1
	global_load_u16 v19, v[5:6], off offset:4
	global_load_u16 v20, v[3:4], off offset:16
	s_waitcnt vmcnt(1)
	v_lshlrev_b32_e32 v19, 16, v19
	s_waitcnt vmcnt(0)
	v_lshlrev_b32_e32 v20, 16, v20
	s_delay_alu instid0(VALU_DEP_1)
	v_fmac_f32_e32 v17, v20, v19
.LBB9_21:                               ;   in Loop: Header=BB9_3 Depth=1
	s_or_b32 exec_lo, exec_lo, s11
	v_add_nc_u32_e32 v19, 1, v18
	v_cmp_lt_i32_e64 s12, -2, v18
	s_add_u32 s13, s52, s50
	s_addc_u32 s69, s53, s51
	v_add_co_u32 v5, s13, s13, v5
	v_cmp_gt_i32_e64 s11, s17, v19
	s_and_b32 s68, s12, s7
	v_add_co_ci_u32_e64 v6, s13, s69, v6, s13
	s_and_b32 s70, s68, s0
	s_delay_alu instid0(VALU_DEP_2) | instid1(SALU_CYCLE_1)
	s_and_b32 s70, s70, s11
	s_delay_alu instid0(SALU_CYCLE_1) | instskip(NEXT) | instid1(SALU_CYCLE_1)
	s_and_b32 s13, s70, s5
	s_and_b32 s69, s13, vcc_lo
	s_delay_alu instid0(SALU_CYCLE_1)
	s_and_saveexec_b32 s13, s69
	s_cbranch_execz .LBB9_23
; %bb.22:                               ;   in Loop: Header=BB9_3 Depth=1
	global_load_u16 v19, v[5:6], off
	global_load_u16 v20, v[3:4], off offset:18
	s_waitcnt vmcnt(1)
	v_lshlrev_b32_e32 v19, 16, v19
	s_waitcnt vmcnt(0)
	v_lshlrev_b32_e32 v20, 16, v20
	s_delay_alu instid0(VALU_DEP_1)
	v_fmac_f32_e32 v17, v20, v19
.LBB9_23:                               ;   in Loop: Header=BB9_3 Depth=1
	s_or_b32 exec_lo, exec_lo, s13
	s_and_b32 s13, s68, s1
	s_delay_alu instid0(SALU_CYCLE_1) | instskip(NEXT) | instid1(SALU_CYCLE_1)
	s_and_b32 s13, s13, s11
	s_and_b32 s13, s13, s5
	s_delay_alu instid0(SALU_CYCLE_1) | instskip(NEXT) | instid1(SALU_CYCLE_1)
	s_and_b32 s69, s13, s2
	s_and_saveexec_b32 s13, s69
	s_cbranch_execz .LBB9_25
; %bb.24:                               ;   in Loop: Header=BB9_3 Depth=1
	global_load_u16 v19, v[5:6], off offset:2
	global_load_u16 v20, v[3:4], off offset:20
	s_waitcnt vmcnt(1)
	v_lshlrev_b32_e32 v19, 16, v19
	s_waitcnt vmcnt(0)
	v_lshlrev_b32_e32 v20, 16, v20
	s_delay_alu instid0(VALU_DEP_1)
	v_fmac_f32_e32 v17, v20, v19
.LBB9_25:                               ;   in Loop: Header=BB9_3 Depth=1
	s_or_b32 exec_lo, exec_lo, s13
	s_and_b32 s13, s68, s3
	s_delay_alu instid0(SALU_CYCLE_1) | instskip(NEXT) | instid1(SALU_CYCLE_1)
	s_and_b32 s13, s13, s11
	s_and_b32 s13, s13, s5
	s_delay_alu instid0(SALU_CYCLE_1) | instskip(NEXT) | instid1(SALU_CYCLE_1)
	s_and_b32 s68, s13, s4
	s_and_saveexec_b32 s13, s68
	s_cbranch_execz .LBB9_27
; %bb.26:                               ;   in Loop: Header=BB9_3 Depth=1
	global_load_u16 v19, v[5:6], off offset:4
	global_load_u16 v20, v[3:4], off offset:22
	s_waitcnt vmcnt(1)
	v_lshlrev_b32_e32 v19, 16, v19
	s_waitcnt vmcnt(0)
	v_lshlrev_b32_e32 v20, 16, v20
	s_delay_alu instid0(VALU_DEP_1)
	v_fmac_f32_e32 v17, v20, v19
.LBB9_27:                               ;   in Loop: Header=BB9_3 Depth=1
	s_or_b32 exec_lo, exec_lo, s13
	s_and_b32 s68, s12, s9
	s_delay_alu instid0(SALU_CYCLE_1) | instskip(NEXT) | instid1(SALU_CYCLE_1)
	s_and_b32 s13, s68, s0
	s_and_b32 s69, s13, s11
	v_add_co_u32 v5, s13, v5, s50
	s_delay_alu instid0(VALU_DEP_1) | instskip(SKIP_1) | instid1(SALU_CYCLE_1)
	v_add_co_ci_u32_e64 v6, s13, s51, v6, s13
	s_and_b32 s13, s69, s6
	s_and_b32 s69, s13, vcc_lo
	s_delay_alu instid0(SALU_CYCLE_1)
	s_and_saveexec_b32 s13, s69
	s_cbranch_execz .LBB9_29
; %bb.28:                               ;   in Loop: Header=BB9_3 Depth=1
	global_load_u16 v19, v[5:6], off
	global_load_u16 v20, v[3:4], off offset:24
	s_waitcnt vmcnt(1)
	v_lshlrev_b32_e32 v19, 16, v19
	s_waitcnt vmcnt(0)
	v_lshlrev_b32_e32 v20, 16, v20
	s_delay_alu instid0(VALU_DEP_1)
	v_fmac_f32_e32 v17, v20, v19
.LBB9_29:                               ;   in Loop: Header=BB9_3 Depth=1
	s_or_b32 exec_lo, exec_lo, s13
	s_and_b32 s13, s68, s1
	s_delay_alu instid0(SALU_CYCLE_1) | instskip(NEXT) | instid1(SALU_CYCLE_1)
	s_and_b32 s13, s13, s11
	s_and_b32 s13, s13, s6
	s_delay_alu instid0(SALU_CYCLE_1) | instskip(NEXT) | instid1(SALU_CYCLE_1)
	s_and_b32 s69, s13, s2
	s_and_saveexec_b32 s13, s69
	s_cbranch_execz .LBB9_31
; %bb.30:                               ;   in Loop: Header=BB9_3 Depth=1
	global_load_u16 v19, v[5:6], off offset:2
	global_load_u16 v20, v[3:4], off offset:26
	s_waitcnt vmcnt(1)
	v_lshlrev_b32_e32 v19, 16, v19
	s_waitcnt vmcnt(0)
	v_lshlrev_b32_e32 v20, 16, v20
	s_delay_alu instid0(VALU_DEP_1)
	v_fmac_f32_e32 v17, v20, v19
.LBB9_31:                               ;   in Loop: Header=BB9_3 Depth=1
	s_or_b32 exec_lo, exec_lo, s13
	s_and_b32 s13, s68, s3
	s_delay_alu instid0(SALU_CYCLE_1) | instskip(NEXT) | instid1(SALU_CYCLE_1)
	s_and_b32 s13, s13, s11
	s_and_b32 s13, s13, s6
	s_delay_alu instid0(SALU_CYCLE_1) | instskip(NEXT) | instid1(SALU_CYCLE_1)
	s_and_b32 s68, s13, s4
	s_and_saveexec_b32 s13, s68
	s_cbranch_execz .LBB9_33
; %bb.32:                               ;   in Loop: Header=BB9_3 Depth=1
	global_load_u16 v19, v[5:6], off offset:4
	global_load_u16 v20, v[3:4], off offset:28
	s_waitcnt vmcnt(1)
	v_lshlrev_b32_e32 v19, 16, v19
	s_waitcnt vmcnt(0)
	v_lshlrev_b32_e32 v20, 16, v20
	s_delay_alu instid0(VALU_DEP_1)
	v_fmac_f32_e32 v17, v20, v19
.LBB9_33:                               ;   in Loop: Header=BB9_3 Depth=1
	s_or_b32 exec_lo, exec_lo, s13
	s_and_b32 s13, s12, s10
	s_delay_alu instid0(SALU_CYCLE_1) | instskip(NEXT) | instid1(SALU_CYCLE_1)
	s_and_b32 s12, s13, s0
	s_and_b32 s68, s12, s11
	v_add_co_u32 v5, s12, v5, s50
	s_delay_alu instid0(VALU_DEP_1) | instskip(SKIP_1) | instid1(SALU_CYCLE_1)
	v_add_co_ci_u32_e64 v6, s12, s51, v6, s12
	s_and_b32 s12, s68, s8
	s_and_b32 s68, s12, vcc_lo
	s_delay_alu instid0(SALU_CYCLE_1)
	s_and_saveexec_b32 s12, s68
	s_cbranch_execz .LBB9_35
; %bb.34:                               ;   in Loop: Header=BB9_3 Depth=1
	global_load_u16 v19, v[5:6], off
	global_load_u16 v20, v[3:4], off offset:30
	s_waitcnt vmcnt(1)
	v_lshlrev_b32_e32 v19, 16, v19
	s_waitcnt vmcnt(0)
	v_lshlrev_b32_e32 v20, 16, v20
	s_delay_alu instid0(VALU_DEP_1)
	v_fmac_f32_e32 v17, v20, v19
.LBB9_35:                               ;   in Loop: Header=BB9_3 Depth=1
	s_or_b32 exec_lo, exec_lo, s12
	s_and_b32 s12, s13, s1
	s_delay_alu instid0(SALU_CYCLE_1) | instskip(NEXT) | instid1(SALU_CYCLE_1)
	s_and_b32 s12, s12, s11
	s_and_b32 s12, s12, s8
	s_delay_alu instid0(SALU_CYCLE_1) | instskip(NEXT) | instid1(SALU_CYCLE_1)
	s_and_b32 s68, s12, s2
	s_and_saveexec_b32 s12, s68
	s_cbranch_execz .LBB9_37
; %bb.36:                               ;   in Loop: Header=BB9_3 Depth=1
	global_load_u16 v19, v[5:6], off offset:2
	global_load_u16 v20, v[3:4], off offset:32
	s_waitcnt vmcnt(1)
	v_lshlrev_b32_e32 v19, 16, v19
	s_waitcnt vmcnt(0)
	v_lshlrev_b32_e32 v20, 16, v20
	s_delay_alu instid0(VALU_DEP_1)
	v_fmac_f32_e32 v17, v20, v19
.LBB9_37:                               ;   in Loop: Header=BB9_3 Depth=1
	s_or_b32 exec_lo, exec_lo, s12
	s_and_b32 s12, s13, s3
	s_delay_alu instid0(SALU_CYCLE_1) | instskip(NEXT) | instid1(SALU_CYCLE_1)
	s_and_b32 s11, s12, s11
	s_and_b32 s11, s11, s8
	s_delay_alu instid0(SALU_CYCLE_1) | instskip(NEXT) | instid1(SALU_CYCLE_1)
	s_and_b32 s12, s11, s4
	s_and_saveexec_b32 s11, s12
	s_cbranch_execz .LBB9_39
; %bb.38:                               ;   in Loop: Header=BB9_3 Depth=1
	global_load_u16 v19, v[5:6], off offset:4
	global_load_u16 v20, v[3:4], off offset:34
	s_waitcnt vmcnt(1)
	v_lshlrev_b32_e32 v19, 16, v19
	s_waitcnt vmcnt(0)
	v_lshlrev_b32_e32 v20, 16, v20
	s_delay_alu instid0(VALU_DEP_1)
	v_fmac_f32_e32 v17, v20, v19
.LBB9_39:                               ;   in Loop: Header=BB9_3 Depth=1
	s_or_b32 exec_lo, exec_lo, s11
	v_add_nc_u32_e32 v19, 2, v18
	v_cmp_lt_i32_e64 s12, -3, v18
	s_add_u32 s68, s52, s50
	s_addc_u32 s69, s53, s51
	s_delay_alu instid0(VALU_DEP_2) | instskip(NEXT) | instid1(VALU_DEP_2)
	v_cmp_gt_i32_e64 s11, s17, v19
	s_and_b32 s13, s12, s7
	s_delay_alu instid0(SALU_CYCLE_1)
	s_and_b32 s7, s13, s0
	s_delay_alu instid0(VALU_DEP_1) | instid1(SALU_CYCLE_1)
	s_and_b32 s70, s7, s11
	v_add_co_u32 v5, s7, s68, v5
	s_delay_alu instid0(VALU_DEP_1) | instskip(SKIP_1) | instid1(SALU_CYCLE_1)
	v_add_co_ci_u32_e64 v6, s7, s69, v6, s7
	s_and_b32 s7, s70, s5
	s_and_b32 s68, s7, vcc_lo
	s_delay_alu instid0(SALU_CYCLE_1)
	s_and_saveexec_b32 s7, s68
	s_cbranch_execz .LBB9_41
; %bb.40:                               ;   in Loop: Header=BB9_3 Depth=1
	global_load_u16 v18, v[5:6], off
	global_load_u16 v19, v[3:4], off offset:36
	s_waitcnt vmcnt(1)
	v_lshlrev_b32_e32 v18, 16, v18
	s_waitcnt vmcnt(0)
	v_lshlrev_b32_e32 v19, 16, v19
	s_delay_alu instid0(VALU_DEP_1)
	v_fmac_f32_e32 v17, v19, v18
.LBB9_41:                               ;   in Loop: Header=BB9_3 Depth=1
	s_or_b32 exec_lo, exec_lo, s7
	s_and_b32 s7, s13, s1
	s_delay_alu instid0(SALU_CYCLE_1) | instskip(NEXT) | instid1(SALU_CYCLE_1)
	s_and_b32 s7, s7, s11
	s_and_b32 s7, s7, s5
	s_delay_alu instid0(SALU_CYCLE_1) | instskip(NEXT) | instid1(SALU_CYCLE_1)
	s_and_b32 s68, s7, s2
	s_and_saveexec_b32 s7, s68
	s_cbranch_execz .LBB9_43
; %bb.42:                               ;   in Loop: Header=BB9_3 Depth=1
	global_load_u16 v18, v[5:6], off offset:2
	global_load_u16 v19, v[3:4], off offset:38
	s_waitcnt vmcnt(1)
	v_lshlrev_b32_e32 v18, 16, v18
	s_waitcnt vmcnt(0)
	v_lshlrev_b32_e32 v19, 16, v19
	s_delay_alu instid0(VALU_DEP_1)
	v_fmac_f32_e32 v17, v19, v18
.LBB9_43:                               ;   in Loop: Header=BB9_3 Depth=1
	s_or_b32 exec_lo, exec_lo, s7
	s_and_b32 s7, s13, s3
	s_delay_alu instid0(SALU_CYCLE_1) | instskip(NEXT) | instid1(SALU_CYCLE_1)
	s_and_b32 s7, s7, s11
	s_and_b32 s5, s7, s5
	s_delay_alu instid0(SALU_CYCLE_1) | instskip(NEXT) | instid1(SALU_CYCLE_1)
	s_and_b32 s7, s5, s4
	s_and_saveexec_b32 s5, s7
	s_cbranch_execz .LBB9_45
; %bb.44:                               ;   in Loop: Header=BB9_3 Depth=1
	global_load_u16 v18, v[5:6], off offset:4
	global_load_u16 v19, v[3:4], off offset:40
	s_waitcnt vmcnt(1)
	v_lshlrev_b32_e32 v18, 16, v18
	s_waitcnt vmcnt(0)
	v_lshlrev_b32_e32 v19, 16, v19
	s_delay_alu instid0(VALU_DEP_1)
	v_fmac_f32_e32 v17, v19, v18
.LBB9_45:                               ;   in Loop: Header=BB9_3 Depth=1
	s_or_b32 exec_lo, exec_lo, s5
	s_and_b32 s7, s12, s9
	s_delay_alu instid0(SALU_CYCLE_1) | instskip(NEXT) | instid1(SALU_CYCLE_1)
	s_and_b32 s5, s7, s0
	s_and_b32 s9, s5, s11
	v_add_co_u32 v5, s5, v5, s50
	s_delay_alu instid0(VALU_DEP_1) | instskip(SKIP_1) | instid1(SALU_CYCLE_1)
	v_add_co_ci_u32_e64 v6, s5, s51, v6, s5
	s_and_b32 s5, s9, s6
	s_and_b32 s9, s5, vcc_lo
	s_delay_alu instid0(SALU_CYCLE_1)
	s_and_saveexec_b32 s5, s9
	s_cbranch_execz .LBB9_47
; %bb.46:                               ;   in Loop: Header=BB9_3 Depth=1
	global_load_u16 v18, v[5:6], off
	global_load_u16 v19, v[3:4], off offset:42
	s_waitcnt vmcnt(1)
	v_lshlrev_b32_e32 v18, 16, v18
	s_waitcnt vmcnt(0)
	v_lshlrev_b32_e32 v19, 16, v19
	s_delay_alu instid0(VALU_DEP_1)
	v_fmac_f32_e32 v17, v19, v18
.LBB9_47:                               ;   in Loop: Header=BB9_3 Depth=1
	s_or_b32 exec_lo, exec_lo, s5
	s_and_b32 s5, s7, s1
	s_delay_alu instid0(SALU_CYCLE_1) | instskip(NEXT) | instid1(SALU_CYCLE_1)
	s_and_b32 s5, s5, s11
	s_and_b32 s5, s5, s6
	s_delay_alu instid0(SALU_CYCLE_1) | instskip(NEXT) | instid1(SALU_CYCLE_1)
	s_and_b32 s9, s5, s2
	s_and_saveexec_b32 s5, s9
	s_cbranch_execz .LBB9_49
; %bb.48:                               ;   in Loop: Header=BB9_3 Depth=1
	global_load_u16 v18, v[5:6], off offset:2
	global_load_u16 v19, v[3:4], off offset:44
	s_waitcnt vmcnt(1)
	v_lshlrev_b32_e32 v18, 16, v18
	s_waitcnt vmcnt(0)
	v_lshlrev_b32_e32 v19, 16, v19
	s_delay_alu instid0(VALU_DEP_1)
	v_fmac_f32_e32 v17, v19, v18
.LBB9_49:                               ;   in Loop: Header=BB9_3 Depth=1
	s_or_b32 exec_lo, exec_lo, s5
	s_and_b32 s5, s7, s3
	s_delay_alu instid0(SALU_CYCLE_1) | instskip(NEXT) | instid1(SALU_CYCLE_1)
	s_and_b32 s5, s5, s11
	s_and_b32 s5, s5, s6
	s_delay_alu instid0(SALU_CYCLE_1) | instskip(NEXT) | instid1(SALU_CYCLE_1)
	s_and_b32 s6, s5, s4
	s_and_saveexec_b32 s5, s6
	s_cbranch_execz .LBB9_51
; %bb.50:                               ;   in Loop: Header=BB9_3 Depth=1
	global_load_u16 v18, v[5:6], off offset:4
	global_load_u16 v19, v[3:4], off offset:46
	s_waitcnt vmcnt(1)
	v_lshlrev_b32_e32 v18, 16, v18
	s_waitcnt vmcnt(0)
	v_lshlrev_b32_e32 v19, 16, v19
	s_delay_alu instid0(VALU_DEP_1)
	v_fmac_f32_e32 v17, v19, v18
.LBB9_51:                               ;   in Loop: Header=BB9_3 Depth=1
	s_or_b32 exec_lo, exec_lo, s5
	s_and_b32 s5, s12, s10
	s_delay_alu instid0(SALU_CYCLE_1) | instskip(NEXT) | instid1(SALU_CYCLE_1)
	s_and_b32 s0, s5, s0
	s_and_b32 s6, s0, s11
	v_add_co_u32 v5, s0, v5, s50
	s_delay_alu instid0(VALU_DEP_1) | instskip(SKIP_1) | instid1(SALU_CYCLE_1)
	v_add_co_ci_u32_e64 v6, s0, s51, v6, s0
	s_and_b32 s0, s6, s8
	s_and_b32 s6, s0, vcc_lo
	s_delay_alu instid0(SALU_CYCLE_1)
	s_and_saveexec_b32 s0, s6
	s_cbranch_execz .LBB9_53
; %bb.52:                               ;   in Loop: Header=BB9_3 Depth=1
	global_load_u16 v18, v[5:6], off
	global_load_u16 v19, v[3:4], off offset:48
	s_waitcnt vmcnt(1)
	v_lshlrev_b32_e32 v18, 16, v18
	s_waitcnt vmcnt(0)
	v_lshlrev_b32_e32 v19, 16, v19
	s_delay_alu instid0(VALU_DEP_1)
	v_fmac_f32_e32 v17, v19, v18
.LBB9_53:                               ;   in Loop: Header=BB9_3 Depth=1
	s_or_b32 exec_lo, exec_lo, s0
	s_and_b32 s0, s5, s1
	s_delay_alu instid0(SALU_CYCLE_1) | instskip(NEXT) | instid1(SALU_CYCLE_1)
	s_and_b32 s0, s0, s11
	s_and_b32 s0, s0, s8
	s_delay_alu instid0(SALU_CYCLE_1) | instskip(NEXT) | instid1(SALU_CYCLE_1)
	s_and_b32 s1, s0, s2
	s_and_saveexec_b32 s0, s1
	s_cbranch_execz .LBB9_55
; %bb.54:                               ;   in Loop: Header=BB9_3 Depth=1
	global_load_u16 v18, v[5:6], off offset:2
	global_load_u16 v19, v[3:4], off offset:50
	s_waitcnt vmcnt(1)
	v_lshlrev_b32_e32 v18, 16, v18
	s_waitcnt vmcnt(0)
	v_lshlrev_b32_e32 v19, 16, v19
	s_delay_alu instid0(VALU_DEP_1)
	v_fmac_f32_e32 v17, v19, v18
.LBB9_55:                               ;   in Loop: Header=BB9_3 Depth=1
	s_or_b32 exec_lo, exec_lo, s0
	s_and_b32 s0, s5, s3
	s_delay_alu instid0(SALU_CYCLE_1) | instskip(NEXT) | instid1(SALU_CYCLE_1)
	s_and_b32 s0, s0, s11
	s_and_b32 s0, s0, s8
	s_delay_alu instid0(SALU_CYCLE_1) | instskip(NEXT) | instid1(SALU_CYCLE_1)
	s_and_b32 s1, s0, s4
	s_and_saveexec_b32 s0, s1
	s_cbranch_execz .LBB9_57
; %bb.56:                               ;   in Loop: Header=BB9_3 Depth=1
	global_load_u16 v5, v[5:6], off offset:4
	global_load_u16 v3, v[3:4], off offset:52
	s_waitcnt vmcnt(1)
	v_lshlrev_b32_e32 v4, 16, v5
	s_waitcnt vmcnt(0)
	v_lshlrev_b32_e32 v3, 16, v3
	s_delay_alu instid0(VALU_DEP_1)
	v_fmac_f32_e32 v17, v3, v4
.LBB9_57:                               ;   in Loop: Header=BB9_3 Depth=1
	s_or_b32 exec_lo, exec_lo, s0
	s_delay_alu instid0(SALU_CYCLE_1)
	s_and_not1_b32 vcc_lo, exec_lo, s56
	s_cbranch_vccnz .LBB9_2
; %bb.58:                               ;   in Loop: Header=BB9_3 Depth=1
	v_lshlrev_b64 v[2:3], 1, v[1:2]
	s_delay_alu instid0(VALU_DEP_1) | instskip(NEXT) | instid1(VALU_DEP_2)
	v_add_co_u32 v2, vcc_lo, s40, v2
	v_add_co_ci_u32_e32 v3, vcc_lo, s41, v3, vcc_lo
	global_load_u16 v2, v[2:3], off
	s_waitcnt vmcnt(0)
	v_lshlrev_b32_e32 v2, 16, v2
	s_delay_alu instid0(VALU_DEP_1)
	v_add_f32_e32 v17, v17, v2
	s_branch .LBB9_2
.LBB9_59:
	s_nop 0
	s_sendmsg sendmsg(MSG_DEALLOC_VGPRS)
	s_endpgm
	.section	.rodata,"a",@progbits
	.p2align	6, 0x0
	.amdhsa_kernel _ZN2at6native12_GLOBAL__N_128conv_depthwise3d_cuda_kernelIN3c108BFloat16EfLi3ELi3ELi3ELi1ELi1ELi1EEEvN5torch10headeronly6detail27GenericPackedTensorAccessorINS7_14TensorAccessorINS3_8ArrayRefIlEEKT_Lm4ENS6_16DefaultPtrTraitsEiEENS_6detail16IndexBoundsCheckILm5EiEESD_Lm5ESE_iEENS8_INS9_ISB_SC_Lm4ESE_iEESI_SC_Lm5ESE_iEESJ_PSD_iiiiiiiii
		.amdhsa_group_segment_fixed_size 0
		.amdhsa_private_segment_fixed_size 0
		.amdhsa_kernarg_size 448
		.amdhsa_user_sgpr_count 15
		.amdhsa_user_sgpr_dispatch_ptr 0
		.amdhsa_user_sgpr_queue_ptr 0
		.amdhsa_user_sgpr_kernarg_segment_ptr 1
		.amdhsa_user_sgpr_dispatch_id 0
		.amdhsa_user_sgpr_private_segment_size 0
		.amdhsa_wavefront_size32 1
		.amdhsa_uses_dynamic_stack 0
		.amdhsa_enable_private_segment 0
		.amdhsa_system_sgpr_workgroup_id_x 1
		.amdhsa_system_sgpr_workgroup_id_y 0
		.amdhsa_system_sgpr_workgroup_id_z 0
		.amdhsa_system_sgpr_workgroup_info 0
		.amdhsa_system_vgpr_workitem_id 0
		.amdhsa_next_free_vgpr 29
		.amdhsa_next_free_sgpr 71
		.amdhsa_reserve_vcc 1
		.amdhsa_float_round_mode_32 0
		.amdhsa_float_round_mode_16_64 0
		.amdhsa_float_denorm_mode_32 3
		.amdhsa_float_denorm_mode_16_64 3
		.amdhsa_dx10_clamp 1
		.amdhsa_ieee_mode 1
		.amdhsa_fp16_overflow 0
		.amdhsa_workgroup_processor_mode 1
		.amdhsa_memory_ordered 1
		.amdhsa_forward_progress 0
		.amdhsa_shared_vgpr_count 0
		.amdhsa_exception_fp_ieee_invalid_op 0
		.amdhsa_exception_fp_denorm_src 0
		.amdhsa_exception_fp_ieee_div_zero 0
		.amdhsa_exception_fp_ieee_overflow 0
		.amdhsa_exception_fp_ieee_underflow 0
		.amdhsa_exception_fp_ieee_inexact 0
		.amdhsa_exception_int_div_zero 0
	.end_amdhsa_kernel
	.section	.text._ZN2at6native12_GLOBAL__N_128conv_depthwise3d_cuda_kernelIN3c108BFloat16EfLi3ELi3ELi3ELi1ELi1ELi1EEEvN5torch10headeronly6detail27GenericPackedTensorAccessorINS7_14TensorAccessorINS3_8ArrayRefIlEEKT_Lm4ENS6_16DefaultPtrTraitsEiEENS_6detail16IndexBoundsCheckILm5EiEESD_Lm5ESE_iEENS8_INS9_ISB_SC_Lm4ESE_iEESI_SC_Lm5ESE_iEESJ_PSD_iiiiiiiii,"axG",@progbits,_ZN2at6native12_GLOBAL__N_128conv_depthwise3d_cuda_kernelIN3c108BFloat16EfLi3ELi3ELi3ELi1ELi1ELi1EEEvN5torch10headeronly6detail27GenericPackedTensorAccessorINS7_14TensorAccessorINS3_8ArrayRefIlEEKT_Lm4ENS6_16DefaultPtrTraitsEiEENS_6detail16IndexBoundsCheckILm5EiEESD_Lm5ESE_iEENS8_INS9_ISB_SC_Lm4ESE_iEESI_SC_Lm5ESE_iEESJ_PSD_iiiiiiiii,comdat
.Lfunc_end9:
	.size	_ZN2at6native12_GLOBAL__N_128conv_depthwise3d_cuda_kernelIN3c108BFloat16EfLi3ELi3ELi3ELi1ELi1ELi1EEEvN5torch10headeronly6detail27GenericPackedTensorAccessorINS7_14TensorAccessorINS3_8ArrayRefIlEEKT_Lm4ENS6_16DefaultPtrTraitsEiEENS_6detail16IndexBoundsCheckILm5EiEESD_Lm5ESE_iEENS8_INS9_ISB_SC_Lm4ESE_iEESI_SC_Lm5ESE_iEESJ_PSD_iiiiiiiii, .Lfunc_end9-_ZN2at6native12_GLOBAL__N_128conv_depthwise3d_cuda_kernelIN3c108BFloat16EfLi3ELi3ELi3ELi1ELi1ELi1EEEvN5torch10headeronly6detail27GenericPackedTensorAccessorINS7_14TensorAccessorINS3_8ArrayRefIlEEKT_Lm4ENS6_16DefaultPtrTraitsEiEENS_6detail16IndexBoundsCheckILm5EiEESD_Lm5ESE_iEENS8_INS9_ISB_SC_Lm4ESE_iEESI_SC_Lm5ESE_iEESJ_PSD_iiiiiiiii
                                        ; -- End function
	.section	.AMDGPU.csdata,"",@progbits
; Kernel info:
; codeLenInByte = 4320
; NumSgprs: 73
; NumVgprs: 29
; ScratchSize: 0
; MemoryBound: 0
; FloatMode: 240
; IeeeMode: 1
; LDSByteSize: 0 bytes/workgroup (compile time only)
; SGPRBlocks: 9
; VGPRBlocks: 3
; NumSGPRsForWavesPerEU: 73
; NumVGPRsForWavesPerEU: 29
; Occupancy: 16
; WaveLimiterHint : 0
; COMPUTE_PGM_RSRC2:SCRATCH_EN: 0
; COMPUTE_PGM_RSRC2:USER_SGPR: 15
; COMPUTE_PGM_RSRC2:TRAP_HANDLER: 0
; COMPUTE_PGM_RSRC2:TGID_X_EN: 1
; COMPUTE_PGM_RSRC2:TGID_Y_EN: 0
; COMPUTE_PGM_RSRC2:TGID_Z_EN: 0
; COMPUTE_PGM_RSRC2:TIDIG_COMP_CNT: 0
	.section	.text._ZN2at6native12_GLOBAL__N_128conv_depthwise3d_cuda_kernelIN3c108BFloat16EfLin1ELin1ELin1ELi1ELi1ELi1EEEvN5torch10headeronly6detail27GenericPackedTensorAccessorINS7_14TensorAccessorINS3_8ArrayRefIlEEKT_Lm4ENS6_16DefaultPtrTraitsEiEENS_6detail16IndexBoundsCheckILm5EiEESD_Lm5ESE_iEENS8_INS9_ISB_SC_Lm4ESE_iEESI_SC_Lm5ESE_iEESJ_PSD_iiiiiiiii,"axG",@progbits,_ZN2at6native12_GLOBAL__N_128conv_depthwise3d_cuda_kernelIN3c108BFloat16EfLin1ELin1ELin1ELi1ELi1ELi1EEEvN5torch10headeronly6detail27GenericPackedTensorAccessorINS7_14TensorAccessorINS3_8ArrayRefIlEEKT_Lm4ENS6_16DefaultPtrTraitsEiEENS_6detail16IndexBoundsCheckILm5EiEESD_Lm5ESE_iEENS8_INS9_ISB_SC_Lm4ESE_iEESI_SC_Lm5ESE_iEESJ_PSD_iiiiiiiii,comdat
	.globl	_ZN2at6native12_GLOBAL__N_128conv_depthwise3d_cuda_kernelIN3c108BFloat16EfLin1ELin1ELin1ELi1ELi1ELi1EEEvN5torch10headeronly6detail27GenericPackedTensorAccessorINS7_14TensorAccessorINS3_8ArrayRefIlEEKT_Lm4ENS6_16DefaultPtrTraitsEiEENS_6detail16IndexBoundsCheckILm5EiEESD_Lm5ESE_iEENS8_INS9_ISB_SC_Lm4ESE_iEESI_SC_Lm5ESE_iEESJ_PSD_iiiiiiiii ; -- Begin function _ZN2at6native12_GLOBAL__N_128conv_depthwise3d_cuda_kernelIN3c108BFloat16EfLin1ELin1ELin1ELi1ELi1ELi1EEEvN5torch10headeronly6detail27GenericPackedTensorAccessorINS7_14TensorAccessorINS3_8ArrayRefIlEEKT_Lm4ENS6_16DefaultPtrTraitsEiEENS_6detail16IndexBoundsCheckILm5EiEESD_Lm5ESE_iEENS8_INS9_ISB_SC_Lm4ESE_iEESI_SC_Lm5ESE_iEESJ_PSD_iiiiiiiii
	.p2align	8
	.type	_ZN2at6native12_GLOBAL__N_128conv_depthwise3d_cuda_kernelIN3c108BFloat16EfLin1ELin1ELin1ELi1ELi1ELi1EEEvN5torch10headeronly6detail27GenericPackedTensorAccessorINS7_14TensorAccessorINS3_8ArrayRefIlEEKT_Lm4ENS6_16DefaultPtrTraitsEiEENS_6detail16IndexBoundsCheckILm5EiEESD_Lm5ESE_iEENS8_INS9_ISB_SC_Lm4ESE_iEESI_SC_Lm5ESE_iEESJ_PSD_iiiiiiiii,@function
_ZN2at6native12_GLOBAL__N_128conv_depthwise3d_cuda_kernelIN3c108BFloat16EfLin1ELin1ELin1ELi1ELi1ELi1EEEvN5torch10headeronly6detail27GenericPackedTensorAccessorINS7_14TensorAccessorINS3_8ArrayRefIlEEKT_Lm4ENS6_16DefaultPtrTraitsEiEENS_6detail16IndexBoundsCheckILm5EiEESD_Lm5ESE_iEENS8_INS9_ISB_SC_Lm4ESE_iEESI_SC_Lm5ESE_iEESJ_PSD_iiiiiiiii: ; @_ZN2at6native12_GLOBAL__N_128conv_depthwise3d_cuda_kernelIN3c108BFloat16EfLin1ELin1ELin1ELi1ELi1ELi1EEEvN5torch10headeronly6detail27GenericPackedTensorAccessorINS7_14TensorAccessorINS3_8ArrayRefIlEEKT_Lm4ENS6_16DefaultPtrTraitsEiEENS_6detail16IndexBoundsCheckILm5EiEESD_Lm5ESE_iEENS8_INS9_ISB_SC_Lm4ESE_iEESI_SC_Lm5ESE_iEESJ_PSD_iiiiiiiii
; %bb.0:
	s_clause 0x3
	s_load_b128 s[4:7], s[0:1], 0xc
	s_load_b32 s12, s[0:1], 0xcc
	s_load_b128 s[8:11], s[0:1], 0x38
	s_load_b64 s[28:29], s[0:1], 0x48
	s_waitcnt lgkmcnt(0)
	s_abs_i32 s16, s4
	s_add_u32 s2, s0, 0xc0
	v_cvt_f32_u32_e32 v1, s16
	s_addc_u32 s3, s1, 0
	s_and_b32 s56, s12, 0xffff
	s_mul_i32 s30, s29, s8
	s_mov_b32 s8, exec_lo
	v_rcp_iflag_f32_e32 v2, v1
	v_mov_b32_e32 v1, 0
	s_ashr_i32 s31, s30, 31
	s_waitcnt_depctr 0xfff
	v_mul_f32_e32 v4, 0x4f7ffffe, v2
	v_mad_u64_u32 v[2:3], null, s56, s15, v[0:1]
	s_delay_alu instid0(VALU_DEP_2) | instskip(NEXT) | instid1(VALU_DEP_1)
	v_cvt_u32_f32_e32 v0, v4
	v_readfirstlane_b32 s12, v0
	s_delay_alu instid0(VALU_DEP_3)
	v_cmpx_gt_i64_e64 s[30:31], v[2:3]
	s_cbranch_execz .LBB10_17
; %bb.1:
	s_sub_i32 s8, 0, s16
	s_abs_i32 s33, s9
	s_mul_i32 s13, s8, s12
	s_ashr_i32 s8, s9, 31
	s_mul_hi_u32 s13, s12, s13
	s_ashr_i32 s4, s4, 31
	s_add_i32 s17, s12, s13
	s_clause 0x1
	s_load_b128 s[12:15], s[0:1], 0x70
	s_load_b64 s[34:35], s[0:1], 0x90
	s_waitcnt lgkmcnt(0)
	s_mul_hi_u32 s15, s33, s17
	s_xor_b32 s18, s8, s4
	s_mul_i32 s17, s15, s16
	v_cvt_f32_u32_e32 v0, s33
	s_sub_i32 s4, s33, s17
	s_add_i32 s17, s15, 1
	s_sub_i32 s19, s4, s16
	s_cmp_ge_u32 s4, s16
	v_rcp_iflag_f32_e32 v0, v0
	s_cselect_b32 s15, s17, s15
	s_cselect_b32 s4, s19, s4
	s_add_i32 s17, s15, 1
	s_cmp_ge_u32 s4, s16
	s_load_b32 s2, s[2:3], 0x0
	s_cselect_b32 s4, s17, s15
	s_load_b64 s[36:37], s[0:1], 0xa8
	s_xor_b32 s15, s4, s18
	s_load_b32 s4, s[0:1], 0x7c
	s_sub_i32 s60, s15, s18
	s_load_b128 s[16:19], s[0:1], 0x98
	s_cmp_gt_i32 s12, 0
	s_mov_b32 s48, 0
	s_cselect_b32 s15, -1, 0
	s_cmp_gt_i32 s13, 0
	s_cselect_b32 s49, -1, 0
	s_cmp_gt_i32 s14, 0
	s_cselect_b32 s50, -1, 0
	s_sub_i32 s20, s6, s13
	s_sub_i32 s44, s7, s14
	s_mul_i32 s46, s7, s20
	s_ashr_i32 s45, s44, 31
	s_ashr_i32 s47, s46, 31
	s_cmp_lg_u64 s[34:35], 0
	s_clause 0x1
	s_load_b64 s[38:39], s[0:1], 0x0
	s_load_b128 s[20:23], s[0:1], 0x1c
	s_cselect_b32 s51, -1, 0
	s_abs_i32 s52, s28
	s_abs_i32 s53, s11
	v_cvt_f32_u32_e32 v1, s52
	v_cvt_f32_u32_e32 v4, s53
	s_abs_i32 s54, s10
	s_abs_i32 s55, s60
	v_cvt_f32_u32_e32 v5, s54
	v_rcp_iflag_f32_e32 v1, v1
	v_rcp_iflag_f32_e32 v4, v4
	v_cvt_f32_u32_e32 v6, s55
	s_sub_i32 s25, 0, s53
	v_rcp_iflag_f32_e32 v5, v5
	v_mul_f32_e32 v0, 0x4f7ffffe, v0
	s_sub_i32 s24, 0, s52
	v_rcp_iflag_f32_e32 v6, v6
	s_clause 0x1
	s_load_b32 s3, s[0:1], 0x2c
	s_load_b64 s[40:41], s[0:1], 0x30
	s_waitcnt lgkmcnt(0)
	s_mul_i32 s56, s2, s56
	v_dual_mul_f32 v1, 0x4f7ffffe, v1 :: v_dual_mul_f32 v4, 0x4f7ffffe, v4
	s_ashr_i32 s57, s28, 31
	s_ashr_i32 s58, s11, 31
	s_waitcnt_depctr 0xfff
	v_mul_f32_e32 v5, 0x4f7ffffe, v5
	v_cvt_u32_f32_e32 v1, v1
	v_cvt_u32_f32_e32 v4, v4
	v_cvt_u32_f32_e32 v0, v0
	s_ashr_i32 s59, s10, 31
	v_cvt_u32_f32_e32 v5, v5
	v_mul_lo_u32 v7, s24, v1
	v_mul_lo_u32 v8, s25, v4
	s_sub_i32 s24, 0, s54
	s_sub_i32 s25, 0, s55
	v_mul_lo_u32 v9, s24, v5
	s_sub_i32 s24, 0, s33
	s_ashr_i32 s60, s60, 31
	v_mul_lo_u32 v10, s24, v0
	v_mul_hi_u32 v7, v1, v7
	v_mul_hi_u32 v12, v4, v8
	v_mul_f32_e32 v6, 0x4f7ffffe, v6
	s_lshl_b64 s[44:45], s[44:45], 1
	v_mul_hi_u32 v13, v5, v9
	s_lshl_b64 s[46:47], s[46:47], 1
	v_mul_hi_u32 v14, v0, v10
	v_add_nc_u32_e32 v8, v1, v7
	v_add_nc_u32_e32 v9, v4, v12
	v_cvt_u32_f32_e32 v6, v6
	v_add_nc_u32_e32 v10, v5, v13
	s_delay_alu instid0(VALU_DEP_2) | instskip(SKIP_3) | instid1(VALU_DEP_1)
	v_mul_lo_u32 v11, s25, v6
	s_clause 0x1
	s_load_b64 s[42:43], s[0:1], 0x60
	s_load_b128 s[24:27], s[0:1], 0x50
	v_mul_hi_u32 v15, v6, v11
	v_add_nc_u32_e32 v11, v0, v14
	s_delay_alu instid0(VALU_DEP_2)
	v_add_nc_u32_e32 v12, v6, v15
	s_branch .LBB10_3
.LBB10_2:                               ;   in Loop: Header=BB10_3 Depth=1
	v_mul_lo_u32 v4, v16, s29
	s_waitcnt lgkmcnt(0)
	v_mul_lo_u32 v0, s24, v0
	v_bfe_u32 v1, v17, 16, 1
	v_mul_lo_u32 v6, s25, v15
	v_mul_lo_u32 v18, s27, v13
	;; [unrolled: 1-line block ×3, first 2 shown]
	s_delay_alu instid0(VALU_DEP_4) | instskip(SKIP_3) | instid1(VALU_DEP_4)
	v_add3_u32 v13, v17, v1, 0x7fff
	v_ashrrev_i32_e32 v5, 31, v4
	v_ashrrev_i32_e32 v1, 31, v0
	;; [unrolled: 1-line block ×3, first 2 shown]
	v_lshrrev_b32_e32 v13, 16, v13
	s_delay_alu instid0(VALU_DEP_4) | instskip(NEXT) | instid1(VALU_DEP_4)
	v_lshlrev_b64 v[4:5], 1, v[4:5]
	v_lshlrev_b64 v[0:1], 1, v[0:1]
	v_ashrrev_i32_e32 v15, 31, v14
	v_ashrrev_i32_e32 v19, 31, v18
	s_delay_alu instid0(VALU_DEP_4) | instskip(SKIP_2) | instid1(VALU_DEP_3)
	v_add_co_u32 v16, vcc_lo, s40, v4
	v_add_co_ci_u32_e32 v20, vcc_lo, s41, v5, vcc_lo
	v_lshlrev_b64 v[4:5], 1, v[6:7]
	v_add_co_u32 v0, vcc_lo, v16, v0
	s_delay_alu instid0(VALU_DEP_3) | instskip(SKIP_2) | instid1(VALU_DEP_4)
	v_add_co_ci_u32_e32 v1, vcc_lo, v20, v1, vcc_lo
	v_cmp_o_f32_e32 vcc_lo, v17, v17
	v_cndmask_b32_e32 v6, 0x7fc0, v13, vcc_lo
	v_add_co_u32 v7, vcc_lo, v0, v4
	s_delay_alu instid0(VALU_DEP_4) | instskip(SKIP_4) | instid1(VALU_DEP_4)
	v_add_co_ci_u32_e32 v13, vcc_lo, v1, v5, vcc_lo
	v_lshlrev_b64 v[0:1], 1, v[14:15]
	v_add_co_u32 v2, vcc_lo, v2, s56
	v_lshlrev_b64 v[4:5], 1, v[18:19]
	v_add_co_ci_u32_e32 v3, vcc_lo, 0, v3, vcc_lo
	v_add_co_u32 v0, vcc_lo, v7, v0
	v_add_co_ci_u32_e32 v1, vcc_lo, v13, v1, vcc_lo
	s_delay_alu instid0(VALU_DEP_3) | instskip(NEXT) | instid1(VALU_DEP_3)
	v_cmp_le_i64_e32 vcc_lo, s[30:31], v[2:3]
	v_add_co_u32 v0, s0, v0, v4
	s_delay_alu instid0(VALU_DEP_1)
	v_add_co_ci_u32_e64 v1, s0, v1, v5, s0
	s_or_b32 s48, vcc_lo, s48
	global_store_b16 v[0:1], v6, off
	s_and_not1_b32 exec_lo, exec_lo, s48
	s_cbranch_execz .LBB10_17
.LBB10_3:                               ; =>This Loop Header: Depth=1
                                        ;     Child Loop BB10_6 Depth 2
                                        ;       Child Loop BB10_9 Depth 3
                                        ;         Child Loop BB10_12 Depth 4
	v_sub_nc_u32_e32 v0, 0, v2
	s_delay_alu instid0(VALU_DEP_1) | instskip(NEXT) | instid1(VALU_DEP_1)
	v_max_i32_e32 v0, v2, v0
	v_mul_hi_u32 v1, v0, v8
	s_delay_alu instid0(VALU_DEP_1) | instskip(NEXT) | instid1(VALU_DEP_1)
	v_mul_lo_u32 v4, v1, s52
	v_sub_nc_u32_e32 v0, v0, v4
	v_add_nc_u32_e32 v4, 1, v1
	s_delay_alu instid0(VALU_DEP_2) | instskip(SKIP_1) | instid1(VALU_DEP_2)
	v_subrev_nc_u32_e32 v5, s52, v0
	v_cmp_le_u32_e32 vcc_lo, s52, v0
	v_dual_cndmask_b32 v1, v1, v4 :: v_dual_cndmask_b32 v0, v0, v5
	v_ashrrev_i32_e32 v4, 31, v2
	s_delay_alu instid0(VALU_DEP_2) | instskip(NEXT) | instid1(VALU_DEP_3)
	v_add_nc_u32_e32 v5, 1, v1
	v_cmp_le_u32_e32 vcc_lo, s52, v0
	s_delay_alu instid0(VALU_DEP_3) | instskip(NEXT) | instid1(VALU_DEP_3)
	v_xor_b32_e32 v4, s57, v4
	v_cndmask_b32_e32 v0, v1, v5, vcc_lo
	s_delay_alu instid0(VALU_DEP_1) | instskip(NEXT) | instid1(VALU_DEP_1)
	v_xor_b32_e32 v0, v0, v4
	v_sub_nc_u32_e32 v1, v0, v4
	s_delay_alu instid0(VALU_DEP_1) | instskip(NEXT) | instid1(VALU_DEP_1)
	v_sub_nc_u32_e32 v0, 0, v1
	v_max_i32_e32 v0, v1, v0
	s_delay_alu instid0(VALU_DEP_1) | instskip(NEXT) | instid1(VALU_DEP_1)
	v_mul_hi_u32 v4, v0, v9
	v_mul_lo_u32 v5, v4, s53
	s_delay_alu instid0(VALU_DEP_1) | instskip(SKIP_1) | instid1(VALU_DEP_2)
	v_sub_nc_u32_e32 v0, v0, v5
	v_add_nc_u32_e32 v5, 1, v4
	v_subrev_nc_u32_e32 v6, s53, v0
	v_cmp_le_u32_e32 vcc_lo, s53, v0
	s_delay_alu instid0(VALU_DEP_3) | instskip(NEXT) | instid1(VALU_DEP_3)
	v_cndmask_b32_e32 v4, v4, v5, vcc_lo
	v_cndmask_b32_e32 v0, v0, v6, vcc_lo
	v_ashrrev_i32_e32 v5, 31, v1
	s_delay_alu instid0(VALU_DEP_3) | instskip(NEXT) | instid1(VALU_DEP_3)
	v_add_nc_u32_e32 v6, 1, v4
	v_cmp_le_u32_e32 vcc_lo, s53, v0
	s_delay_alu instid0(VALU_DEP_3) | instskip(NEXT) | instid1(VALU_DEP_3)
	v_xor_b32_e32 v5, s58, v5
	v_cndmask_b32_e32 v0, v4, v6, vcc_lo
	s_delay_alu instid0(VALU_DEP_1) | instskip(NEXT) | instid1(VALU_DEP_1)
	v_xor_b32_e32 v0, v0, v5
	v_sub_nc_u32_e32 v4, v0, v5
	s_delay_alu instid0(VALU_DEP_1) | instskip(NEXT) | instid1(VALU_DEP_1)
	v_sub_nc_u32_e32 v0, 0, v4
	v_max_i32_e32 v0, v4, v0
	s_delay_alu instid0(VALU_DEP_1) | instskip(NEXT) | instid1(VALU_DEP_1)
	v_mul_hi_u32 v5, v0, v10
	v_mul_lo_u32 v6, v5, s54
	s_delay_alu instid0(VALU_DEP_1) | instskip(SKIP_1) | instid1(VALU_DEP_2)
	v_sub_nc_u32_e32 v0, v0, v6
	v_add_nc_u32_e32 v6, 1, v5
	v_subrev_nc_u32_e32 v7, s54, v0
	v_cmp_le_u32_e32 vcc_lo, s54, v0
	s_delay_alu instid0(VALU_DEP_2) | instskip(SKIP_1) | instid1(VALU_DEP_2)
	v_dual_cndmask_b32 v5, v5, v6 :: v_dual_cndmask_b32 v0, v0, v7
	v_ashrrev_i32_e32 v6, 31, v4
	v_add_nc_u32_e32 v7, 1, v5
	s_delay_alu instid0(VALU_DEP_3) | instskip(NEXT) | instid1(VALU_DEP_3)
	v_cmp_le_u32_e32 vcc_lo, s54, v0
	v_xor_b32_e32 v6, s59, v6
	s_delay_alu instid0(VALU_DEP_3) | instskip(NEXT) | instid1(VALU_DEP_1)
	v_cndmask_b32_e32 v0, v5, v7, vcc_lo
	v_xor_b32_e32 v0, v0, v6
	s_delay_alu instid0(VALU_DEP_1) | instskip(NEXT) | instid1(VALU_DEP_1)
	v_sub_nc_u32_e32 v0, v0, v6
	v_sub_nc_u32_e32 v5, 0, v0
	v_mul_lo_u32 v15, v0, s10
	s_delay_alu instid0(VALU_DEP_2) | instskip(NEXT) | instid1(VALU_DEP_2)
	v_max_i32_e32 v5, v0, v5
	v_sub_nc_u32_e32 v15, v4, v15
	s_delay_alu instid0(VALU_DEP_2) | instskip(NEXT) | instid1(VALU_DEP_1)
	v_mul_hi_u32 v6, v5, v11
	v_mul_lo_u32 v7, v6, s33
	s_delay_alu instid0(VALU_DEP_1) | instskip(SKIP_1) | instid1(VALU_DEP_2)
	v_sub_nc_u32_e32 v5, v5, v7
	v_add_nc_u32_e32 v7, 1, v6
	v_subrev_nc_u32_e32 v13, s33, v5
	v_cmp_le_u32_e32 vcc_lo, s33, v5
	s_delay_alu instid0(VALU_DEP_2) | instskip(SKIP_1) | instid1(VALU_DEP_2)
	v_dual_cndmask_b32 v6, v6, v7 :: v_dual_cndmask_b32 v5, v5, v13
	v_ashrrev_i32_e32 v7, 31, v0
	v_add_nc_u32_e32 v13, 1, v6
	s_delay_alu instid0(VALU_DEP_3) | instskip(NEXT) | instid1(VALU_DEP_3)
	v_cmp_le_u32_e32 vcc_lo, s33, v5
	v_xor_b32_e32 v7, s8, v7
	s_delay_alu instid0(VALU_DEP_3) | instskip(SKIP_2) | instid1(VALU_DEP_2)
	v_cndmask_b32_e32 v5, v6, v13, vcc_lo
	v_mul_lo_u32 v6, v1, s28
	s_and_not1_b32 vcc_lo, exec_lo, s15
	v_xor_b32_e32 v5, v5, v7
	s_delay_alu instid0(VALU_DEP_2) | instskip(NEXT) | instid1(VALU_DEP_2)
	v_sub_nc_u32_e32 v13, v2, v6
	v_sub_nc_u32_e32 v16, v5, v7
	v_mul_lo_u32 v7, v4, s11
	s_delay_alu instid0(VALU_DEP_2) | instskip(NEXT) | instid1(VALU_DEP_2)
	v_mul_lo_u32 v5, v16, s9
	v_sub_nc_u32_e32 v14, v1, v7
	s_delay_alu instid0(VALU_DEP_2) | instskip(NEXT) | instid1(VALU_DEP_1)
	v_sub_nc_u32_e32 v0, v0, v5
	v_ashrrev_i32_e32 v1, 31, v0
	s_cbranch_vccnz .LBB10_14
; %bb.4:                                ;   in Loop: Header=BB10_3 Depth=1
	v_sub_nc_u32_e32 v4, 0, v0
	v_mul_lo_u32 v17, v15, s16
	v_mul_lo_u32 v19, v14, s17
	s_mov_b32 s61, 0
	s_delay_alu instid0(VALU_DEP_3) | instskip(NEXT) | instid1(VALU_DEP_3)
	v_max_i32_e32 v4, v0, v4
	v_subrev_nc_u32_e32 v18, s19, v17
	s_delay_alu instid0(VALU_DEP_2) | instskip(NEXT) | instid1(VALU_DEP_4)
	v_mul_hi_u32 v5, v4, v12
	v_subrev_nc_u32_e32 v19, s36, v19
	s_delay_alu instid0(VALU_DEP_3) | instskip(NEXT) | instid1(VALU_DEP_2)
	v_mul_lo_u32 v23, s22, v18
	v_mul_lo_u32 v25, s23, v19
	s_delay_alu instid0(VALU_DEP_4) | instskip(NEXT) | instid1(VALU_DEP_3)
	v_mul_lo_u32 v6, v5, s55
	v_ashrrev_i32_e32 v24, 31, v23
	s_delay_alu instid0(VALU_DEP_3) | instskip(NEXT) | instid1(VALU_DEP_3)
	v_ashrrev_i32_e32 v26, 31, v25
	v_sub_nc_u32_e32 v4, v4, v6
	v_add_nc_u32_e32 v6, 1, v5
	s_delay_alu instid0(VALU_DEP_2) | instskip(SKIP_1) | instid1(VALU_DEP_2)
	v_subrev_nc_u32_e32 v7, s55, v4
	v_cmp_le_u32_e32 vcc_lo, s55, v4
	v_dual_cndmask_b32 v5, v5, v6 :: v_dual_cndmask_b32 v4, v4, v7
	v_xor_b32_e32 v7, s60, v1
	s_delay_alu instid0(VALU_DEP_2) | instskip(NEXT) | instid1(VALU_DEP_3)
	v_add_nc_u32_e32 v6, 1, v5
	v_cmp_le_u32_e32 vcc_lo, s55, v4
	s_delay_alu instid0(VALU_DEP_2) | instskip(SKIP_1) | instid1(VALU_DEP_2)
	v_cndmask_b32_e32 v4, v5, v6, vcc_lo
	v_mul_lo_u32 v6, s4, v0
	v_xor_b32_e32 v5, v4, v7
	v_mul_lo_u32 v4, s20, v16
	s_delay_alu instid0(VALU_DEP_2) | instskip(SKIP_1) | instid1(VALU_DEP_2)
	v_sub_nc_u32_e32 v5, v5, v7
	v_mul_lo_u32 v7, v13, s18
	v_mul_lo_u32 v21, s21, v5
	s_delay_alu instid0(VALU_DEP_4) | instskip(NEXT) | instid1(VALU_DEP_3)
	v_ashrrev_i32_e32 v5, 31, v4
	v_subrev_nc_u32_e32 v20, s37, v7
	v_ashrrev_i32_e32 v7, 31, v6
	s_delay_alu instid0(VALU_DEP_3) | instskip(SKIP_1) | instid1(VALU_DEP_4)
	v_lshlrev_b64 v[4:5], 1, v[4:5]
	v_ashrrev_i32_e32 v22, 31, v21
	v_mul_lo_u32 v27, s3, v20
	s_delay_alu instid0(VALU_DEP_4) | instskip(NEXT) | instid1(VALU_DEP_4)
	v_lshlrev_b64 v[6:7], 1, v[6:7]
	v_add_co_u32 v17, vcc_lo, s38, v4
	s_delay_alu instid0(VALU_DEP_4) | instskip(SKIP_3) | instid1(VALU_DEP_4)
	v_lshlrev_b64 v[21:22], 1, v[21:22]
	v_add_co_ci_u32_e32 v29, vcc_lo, s39, v5, vcc_lo
	v_lshlrev_b64 v[4:5], 1, v[23:24]
	v_ashrrev_i32_e32 v28, 31, v27
	v_add_co_u32 v17, vcc_lo, v17, v21
	s_delay_alu instid0(VALU_DEP_4) | instskip(SKIP_1) | instid1(VALU_DEP_3)
	v_add_co_ci_u32_e32 v23, vcc_lo, v29, v22, vcc_lo
	v_lshlrev_b64 v[21:22], 1, v[25:26]
	v_add_co_u32 v4, vcc_lo, v17, v4
	s_delay_alu instid0(VALU_DEP_3) | instskip(SKIP_1) | instid1(VALU_DEP_3)
	v_add_co_ci_u32_e32 v5, vcc_lo, v23, v5, vcc_lo
	v_lshlrev_b64 v[23:24], 1, v[27:28]
	v_add_co_u32 v17, vcc_lo, v4, v21
	s_delay_alu instid0(VALU_DEP_3)
	v_add_co_ci_u32_e32 v21, vcc_lo, v5, v22, vcc_lo
	s_waitcnt lgkmcnt(0)
	v_add_co_u32 v4, vcc_lo, s42, v6
	v_add_co_ci_u32_e32 v5, vcc_lo, s43, v7, vcc_lo
	v_add_co_u32 v6, vcc_lo, v17, v23
	v_add_co_ci_u32_e32 v7, vcc_lo, v21, v24, vcc_lo
	v_mov_b32_e32 v17, 0
	s_branch .LBB10_6
.LBB10_5:                               ;   in Loop: Header=BB10_6 Depth=2
	s_set_inst_prefetch_distance 0x2
	v_add_co_u32 v6, vcc_lo, v6, s46
	v_add_co_ci_u32_e32 v7, vcc_lo, s47, v7, vcc_lo
	s_add_i32 s61, s61, 1
	s_delay_alu instid0(SALU_CYCLE_1)
	s_cmp_eq_u32 s61, s12
	s_cbranch_scc1 .LBB10_15
.LBB10_6:                               ;   Parent Loop BB10_3 Depth=1
                                        ; =>  This Loop Header: Depth=2
                                        ;       Child Loop BB10_9 Depth 3
                                        ;         Child Loop BB10_12 Depth 4
	s_and_not1_b32 vcc_lo, exec_lo, s49
	s_cbranch_vccnz .LBB10_5
; %bb.7:                                ;   in Loop: Header=BB10_6 Depth=2
	v_add_nc_u32_e32 v21, s61, v18
	s_mov_b32 s62, 0
	s_delay_alu instid0(VALU_DEP_1)
	v_cmp_lt_i32_e64 s0, -1, v21
	v_cmp_gt_i32_e64 s1, s5, v21
	s_set_inst_prefetch_distance 0x1
	s_branch .LBB10_9
	.p2align	6
.LBB10_8:                               ;   in Loop: Header=BB10_9 Depth=3
	v_add_co_u32 v6, vcc_lo, v6, s44
	v_add_co_ci_u32_e32 v7, vcc_lo, s45, v7, vcc_lo
	s_add_i32 s62, s62, 1
	s_delay_alu instid0(SALU_CYCLE_1)
	s_cmp_eq_u32 s62, s13
	s_cbranch_scc1 .LBB10_5
.LBB10_9:                               ;   Parent Loop BB10_3 Depth=1
                                        ;     Parent Loop BB10_6 Depth=2
                                        ; =>    This Loop Header: Depth=3
                                        ;         Child Loop BB10_12 Depth 4
	s_and_not1_b32 vcc_lo, exec_lo, s50
	s_cbranch_vccnz .LBB10_8
; %bb.10:                               ;   in Loop: Header=BB10_9 Depth=3
	v_dual_mov_b32 v21, v20 :: v_dual_add_nc_u32 v22, s62, v19
	s_mov_b32 s64, s14
	s_delay_alu instid0(VALU_DEP_1) | instskip(SKIP_1) | instid1(VALU_DEP_2)
	v_cmp_lt_i32_e64 s2, -1, v22
	v_cmp_gt_i32_e32 vcc_lo, s6, v22
	s_and_b32 s63, s0, s2
	s_branch .LBB10_12
	.p2align	6
.LBB10_11:                              ;   in Loop: Header=BB10_12 Depth=4
	s_or_b32 exec_lo, exec_lo, s2
	v_add_co_u32 v4, s2, v4, 2
	s_delay_alu instid0(VALU_DEP_1) | instskip(SKIP_1) | instid1(VALU_DEP_1)
	v_add_co_ci_u32_e64 v5, s2, 0, v5, s2
	v_add_co_u32 v6, s2, v6, 2
	v_add_co_ci_u32_e64 v7, s2, 0, v7, s2
	v_add_nc_u32_e32 v21, 1, v21
	s_add_i32 s64, s64, -1
	s_delay_alu instid0(SALU_CYCLE_1)
	s_cmp_eq_u32 s64, 0
	s_cbranch_scc1 .LBB10_8
.LBB10_12:                              ;   Parent Loop BB10_3 Depth=1
                                        ;     Parent Loop BB10_6 Depth=2
                                        ;       Parent Loop BB10_9 Depth=3
                                        ; =>      This Inner Loop Header: Depth=4
	s_delay_alu instid0(VALU_DEP_1) | instskip(NEXT) | instid1(VALU_DEP_1)
	v_cmp_lt_i32_e64 s2, -1, v21
	s_and_b32 s65, s63, s2
	v_cmp_gt_i32_e64 s2, s7, v21
	s_and_b32 s65, s65, s1
	s_delay_alu instid0(SALU_CYCLE_1)
	s_and_b32 s65, s65, vcc_lo
	s_delay_alu instid0(VALU_DEP_1) | instid1(SALU_CYCLE_1)
	s_and_b32 s65, s65, s2
	s_delay_alu instid0(SALU_CYCLE_1)
	s_and_saveexec_b32 s2, s65
	s_cbranch_execz .LBB10_11
; %bb.13:                               ;   in Loop: Header=BB10_12 Depth=4
	global_load_u16 v22, v[6:7], off
	global_load_u16 v23, v[4:5], off
	s_waitcnt vmcnt(1)
	v_lshlrev_b32_e32 v22, 16, v22
	s_waitcnt vmcnt(0)
	v_lshlrev_b32_e32 v23, 16, v23
	s_delay_alu instid0(VALU_DEP_1)
	v_fmac_f32_e32 v17, v23, v22
	s_branch .LBB10_11
.LBB10_14:                              ;   in Loop: Header=BB10_3 Depth=1
	v_mov_b32_e32 v17, 0
.LBB10_15:                              ;   in Loop: Header=BB10_3 Depth=1
	s_and_b32 vcc_lo, exec_lo, s51
	s_cbranch_vccz .LBB10_2
; %bb.16:                               ;   in Loop: Header=BB10_3 Depth=1
	v_lshlrev_b64 v[4:5], 1, v[0:1]
	s_delay_alu instid0(VALU_DEP_1) | instskip(NEXT) | instid1(VALU_DEP_2)
	v_add_co_u32 v4, vcc_lo, s34, v4
	v_add_co_ci_u32_e32 v5, vcc_lo, s35, v5, vcc_lo
	global_load_u16 v1, v[4:5], off
	s_waitcnt vmcnt(0)
	v_lshlrev_b32_e32 v1, 16, v1
	s_delay_alu instid0(VALU_DEP_1)
	v_add_f32_e32 v17, v17, v1
	s_branch .LBB10_2
.LBB10_17:
	s_nop 0
	s_sendmsg sendmsg(MSG_DEALLOC_VGPRS)
	s_endpgm
	.section	.rodata,"a",@progbits
	.p2align	6, 0x0
	.amdhsa_kernel _ZN2at6native12_GLOBAL__N_128conv_depthwise3d_cuda_kernelIN3c108BFloat16EfLin1ELin1ELin1ELi1ELi1ELi1EEEvN5torch10headeronly6detail27GenericPackedTensorAccessorINS7_14TensorAccessorINS3_8ArrayRefIlEEKT_Lm4ENS6_16DefaultPtrTraitsEiEENS_6detail16IndexBoundsCheckILm5EiEESD_Lm5ESE_iEENS8_INS9_ISB_SC_Lm4ESE_iEESI_SC_Lm5ESE_iEESJ_PSD_iiiiiiiii
		.amdhsa_group_segment_fixed_size 0
		.amdhsa_private_segment_fixed_size 0
		.amdhsa_kernarg_size 448
		.amdhsa_user_sgpr_count 15
		.amdhsa_user_sgpr_dispatch_ptr 0
		.amdhsa_user_sgpr_queue_ptr 0
		.amdhsa_user_sgpr_kernarg_segment_ptr 1
		.amdhsa_user_sgpr_dispatch_id 0
		.amdhsa_user_sgpr_private_segment_size 0
		.amdhsa_wavefront_size32 1
		.amdhsa_uses_dynamic_stack 0
		.amdhsa_enable_private_segment 0
		.amdhsa_system_sgpr_workgroup_id_x 1
		.amdhsa_system_sgpr_workgroup_id_y 0
		.amdhsa_system_sgpr_workgroup_id_z 0
		.amdhsa_system_sgpr_workgroup_info 0
		.amdhsa_system_vgpr_workitem_id 0
		.amdhsa_next_free_vgpr 30
		.amdhsa_next_free_sgpr 66
		.amdhsa_reserve_vcc 1
		.amdhsa_float_round_mode_32 0
		.amdhsa_float_round_mode_16_64 0
		.amdhsa_float_denorm_mode_32 3
		.amdhsa_float_denorm_mode_16_64 3
		.amdhsa_dx10_clamp 1
		.amdhsa_ieee_mode 1
		.amdhsa_fp16_overflow 0
		.amdhsa_workgroup_processor_mode 1
		.amdhsa_memory_ordered 1
		.amdhsa_forward_progress 0
		.amdhsa_shared_vgpr_count 0
		.amdhsa_exception_fp_ieee_invalid_op 0
		.amdhsa_exception_fp_denorm_src 0
		.amdhsa_exception_fp_ieee_div_zero 0
		.amdhsa_exception_fp_ieee_overflow 0
		.amdhsa_exception_fp_ieee_underflow 0
		.amdhsa_exception_fp_ieee_inexact 0
		.amdhsa_exception_int_div_zero 0
	.end_amdhsa_kernel
	.section	.text._ZN2at6native12_GLOBAL__N_128conv_depthwise3d_cuda_kernelIN3c108BFloat16EfLin1ELin1ELin1ELi1ELi1ELi1EEEvN5torch10headeronly6detail27GenericPackedTensorAccessorINS7_14TensorAccessorINS3_8ArrayRefIlEEKT_Lm4ENS6_16DefaultPtrTraitsEiEENS_6detail16IndexBoundsCheckILm5EiEESD_Lm5ESE_iEENS8_INS9_ISB_SC_Lm4ESE_iEESI_SC_Lm5ESE_iEESJ_PSD_iiiiiiiii,"axG",@progbits,_ZN2at6native12_GLOBAL__N_128conv_depthwise3d_cuda_kernelIN3c108BFloat16EfLin1ELin1ELin1ELi1ELi1ELi1EEEvN5torch10headeronly6detail27GenericPackedTensorAccessorINS7_14TensorAccessorINS3_8ArrayRefIlEEKT_Lm4ENS6_16DefaultPtrTraitsEiEENS_6detail16IndexBoundsCheckILm5EiEESD_Lm5ESE_iEENS8_INS9_ISB_SC_Lm4ESE_iEESI_SC_Lm5ESE_iEESJ_PSD_iiiiiiiii,comdat
.Lfunc_end10:
	.size	_ZN2at6native12_GLOBAL__N_128conv_depthwise3d_cuda_kernelIN3c108BFloat16EfLin1ELin1ELin1ELi1ELi1ELi1EEEvN5torch10headeronly6detail27GenericPackedTensorAccessorINS7_14TensorAccessorINS3_8ArrayRefIlEEKT_Lm4ENS6_16DefaultPtrTraitsEiEENS_6detail16IndexBoundsCheckILm5EiEESD_Lm5ESE_iEENS8_INS9_ISB_SC_Lm4ESE_iEESI_SC_Lm5ESE_iEESJ_PSD_iiiiiiiii, .Lfunc_end10-_ZN2at6native12_GLOBAL__N_128conv_depthwise3d_cuda_kernelIN3c108BFloat16EfLin1ELin1ELin1ELi1ELi1ELi1EEEvN5torch10headeronly6detail27GenericPackedTensorAccessorINS7_14TensorAccessorINS3_8ArrayRefIlEEKT_Lm4ENS6_16DefaultPtrTraitsEiEENS_6detail16IndexBoundsCheckILm5EiEESD_Lm5ESE_iEENS8_INS9_ISB_SC_Lm4ESE_iEESI_SC_Lm5ESE_iEESJ_PSD_iiiiiiiii
                                        ; -- End function
	.section	.AMDGPU.csdata,"",@progbits
; Kernel info:
; codeLenInByte = 2184
; NumSgprs: 68
; NumVgprs: 30
; ScratchSize: 0
; MemoryBound: 0
; FloatMode: 240
; IeeeMode: 1
; LDSByteSize: 0 bytes/workgroup (compile time only)
; SGPRBlocks: 8
; VGPRBlocks: 3
; NumSGPRsForWavesPerEU: 68
; NumVGPRsForWavesPerEU: 30
; Occupancy: 16
; WaveLimiterHint : 0
; COMPUTE_PGM_RSRC2:SCRATCH_EN: 0
; COMPUTE_PGM_RSRC2:USER_SGPR: 15
; COMPUTE_PGM_RSRC2:TRAP_HANDLER: 0
; COMPUTE_PGM_RSRC2:TGID_X_EN: 1
; COMPUTE_PGM_RSRC2:TGID_Y_EN: 0
; COMPUTE_PGM_RSRC2:TGID_Z_EN: 0
; COMPUTE_PGM_RSRC2:TIDIG_COMP_CNT: 0
	.section	.text._ZN2at6native12_GLOBAL__N_128conv_depthwise3d_cuda_kernelIN3c108BFloat16EfLin1ELin1ELin1ELin1ELin1ELin1EEEvN5torch10headeronly6detail27GenericPackedTensorAccessorINS7_14TensorAccessorINS3_8ArrayRefIlEEKT_Lm4ENS6_16DefaultPtrTraitsEiEENS_6detail16IndexBoundsCheckILm5EiEESD_Lm5ESE_iEENS8_INS9_ISB_SC_Lm4ESE_iEESI_SC_Lm5ESE_iEESJ_PSD_iiiiiiiii,"axG",@progbits,_ZN2at6native12_GLOBAL__N_128conv_depthwise3d_cuda_kernelIN3c108BFloat16EfLin1ELin1ELin1ELin1ELin1ELin1EEEvN5torch10headeronly6detail27GenericPackedTensorAccessorINS7_14TensorAccessorINS3_8ArrayRefIlEEKT_Lm4ENS6_16DefaultPtrTraitsEiEENS_6detail16IndexBoundsCheckILm5EiEESD_Lm5ESE_iEENS8_INS9_ISB_SC_Lm4ESE_iEESI_SC_Lm5ESE_iEESJ_PSD_iiiiiiiii,comdat
	.globl	_ZN2at6native12_GLOBAL__N_128conv_depthwise3d_cuda_kernelIN3c108BFloat16EfLin1ELin1ELin1ELin1ELin1ELin1EEEvN5torch10headeronly6detail27GenericPackedTensorAccessorINS7_14TensorAccessorINS3_8ArrayRefIlEEKT_Lm4ENS6_16DefaultPtrTraitsEiEENS_6detail16IndexBoundsCheckILm5EiEESD_Lm5ESE_iEENS8_INS9_ISB_SC_Lm4ESE_iEESI_SC_Lm5ESE_iEESJ_PSD_iiiiiiiii ; -- Begin function _ZN2at6native12_GLOBAL__N_128conv_depthwise3d_cuda_kernelIN3c108BFloat16EfLin1ELin1ELin1ELin1ELin1ELin1EEEvN5torch10headeronly6detail27GenericPackedTensorAccessorINS7_14TensorAccessorINS3_8ArrayRefIlEEKT_Lm4ENS6_16DefaultPtrTraitsEiEENS_6detail16IndexBoundsCheckILm5EiEESD_Lm5ESE_iEENS8_INS9_ISB_SC_Lm4ESE_iEESI_SC_Lm5ESE_iEESJ_PSD_iiiiiiiii
	.p2align	8
	.type	_ZN2at6native12_GLOBAL__N_128conv_depthwise3d_cuda_kernelIN3c108BFloat16EfLin1ELin1ELin1ELin1ELin1ELin1EEEvN5torch10headeronly6detail27GenericPackedTensorAccessorINS7_14TensorAccessorINS3_8ArrayRefIlEEKT_Lm4ENS6_16DefaultPtrTraitsEiEENS_6detail16IndexBoundsCheckILm5EiEESD_Lm5ESE_iEENS8_INS9_ISB_SC_Lm4ESE_iEESI_SC_Lm5ESE_iEESJ_PSD_iiiiiiiii,@function
_ZN2at6native12_GLOBAL__N_128conv_depthwise3d_cuda_kernelIN3c108BFloat16EfLin1ELin1ELin1ELin1ELin1ELin1EEEvN5torch10headeronly6detail27GenericPackedTensorAccessorINS7_14TensorAccessorINS3_8ArrayRefIlEEKT_Lm4ENS6_16DefaultPtrTraitsEiEENS_6detail16IndexBoundsCheckILm5EiEESD_Lm5ESE_iEENS8_INS9_ISB_SC_Lm4ESE_iEESI_SC_Lm5ESE_iEESJ_PSD_iiiiiiiii: ; @_ZN2at6native12_GLOBAL__N_128conv_depthwise3d_cuda_kernelIN3c108BFloat16EfLin1ELin1ELin1ELin1ELin1ELin1EEEvN5torch10headeronly6detail27GenericPackedTensorAccessorINS7_14TensorAccessorINS3_8ArrayRefIlEEKT_Lm4ENS6_16DefaultPtrTraitsEiEENS_6detail16IndexBoundsCheckILm5EiEESD_Lm5ESE_iEENS8_INS9_ISB_SC_Lm4ESE_iEESI_SC_Lm5ESE_iEESJ_PSD_iiiiiiiii
; %bb.0:
	s_clause 0x3
	s_load_b128 s[16:19], s[0:1], 0xc
	s_load_b32 s4, s[0:1], 0xcc
	s_load_b128 s[20:23], s[0:1], 0x38
	s_load_b64 s[34:35], s[0:1], 0x48
	s_mov_b32 s5, exec_lo
	s_waitcnt lgkmcnt(0)
	s_abs_i32 s24, s16
	s_add_u32 s2, s0, 0xc0
	v_cvt_f32_u32_e32 v1, s24
	s_addc_u32 s3, s1, 0
	s_and_b32 s48, s4, 0xffff
	s_mul_i32 s36, s35, s20
	s_delay_alu instid0(SALU_CYCLE_1) | instskip(SKIP_3) | instid1(VALU_DEP_1)
	s_ashr_i32 s37, s36, 31
	v_rcp_iflag_f32_e32 v2, v1
	s_waitcnt_depctr 0xfff
	v_dual_mov_b32 v1, 0 :: v_dual_mul_f32 v4, 0x4f7ffffe, v2
	v_mad_u64_u32 v[2:3], null, s48, s15, v[0:1]
	s_delay_alu instid0(VALU_DEP_2) | instskip(NEXT) | instid1(VALU_DEP_1)
	v_cvt_u32_f32_e32 v0, v4
	v_readfirstlane_b32 s4, v0
	s_delay_alu instid0(VALU_DEP_3)
	v_cmpx_gt_i64_e64 s[36:37], v[2:3]
	s_cbranch_execz .LBB11_17
; %bb.1:
	s_sub_i32 s5, 0, s24
	s_ashr_i32 s25, s16, 31
	s_mul_i32 s5, s5, s4
	s_abs_i32 s16, s21
	s_mul_hi_u32 s5, s4, s5
	s_clause 0x1
	s_load_b128 s[12:15], s[0:1], 0x70
	s_load_b64 s[40:41], s[0:1], 0x90
	s_add_i32 s4, s4, s5
	s_ashr_i32 s20, s21, 31
	s_waitcnt lgkmcnt(0)
	s_mul_hi_u32 s15, s16, s4
	s_load_b256 s[4:11], s[0:1], 0x98
	s_mul_i32 s26, s15, s24
	s_load_b32 s38, s[0:1], 0xb8
	s_sub_i32 s26, s16, s26
	s_xor_b32 s25, s20, s25
	s_add_i32 s27, s15, 1
	s_sub_i32 s28, s26, s24
	s_cmp_ge_u32 s26, s24
	s_load_b32 s2, s[2:3], 0x0
	s_cselect_b32 s15, s27, s15
	s_cselect_b32 s26, s28, s26
	s_add_i32 s27, s15, 1
	s_cmp_ge_u32 s26, s24
	v_cvt_f32_u32_e32 v5, s16
	s_cselect_b32 s15, s27, s15
	s_mov_b32 s59, 0
	s_xor_b32 s24, s15, s25
	s_load_b32 s15, s[0:1], 0x7c
	s_sub_i32 s49, s24, s25
	s_cmp_gt_i32 s12, 0
	s_waitcnt lgkmcnt(0)
	s_mul_i32 s25, s18, s10
	s_cselect_b32 s33, -1, 0
	s_cmp_gt_i32 s13, 0
	s_mul_i32 s26, s13, s11
	s_cselect_b32 s54, -1, 0
	s_cmp_gt_i32 s14, 0
	s_mul_i32 s24, s19, s11
	s_cselect_b32 s55, -1, 0
	s_mul_i32 s27, s14, s38
	s_sub_i32 s25, s25, s26
	s_sub_i32 s50, s24, s27
	s_mul_i32 s52, s25, s19
	s_ashr_i32 s39, s38, 31
	s_ashr_i32 s51, s50, 31
	;; [unrolled: 1-line block ×3, first 2 shown]
	s_cmp_lg_u64 s[40:41], 0
	v_rcp_iflag_f32_e32 v5, v5
	s_cselect_b32 s56, -1, 0
	s_abs_i32 s57, s34
	s_abs_i32 s58, s23
	v_cvt_f32_u32_e32 v0, s57
	v_cvt_f32_u32_e32 v1, s58
	s_abs_i32 s3, s22
	s_abs_i32 s60, s49
	v_cvt_f32_u32_e32 v4, s3
	v_rcp_iflag_f32_e32 v0, v0
	v_rcp_iflag_f32_e32 v1, v1
	v_cvt_f32_u32_e32 v6, s60
	s_sub_i32 s29, 0, s58
	v_rcp_iflag_f32_e32 v4, v4
	v_mul_f32_e32 v5, 0x4f7ffffe, v5
	s_sub_i32 s28, 0, s57
	v_rcp_iflag_f32_e32 v6, v6
	s_clause 0x3
	s_load_b64 s[42:43], s[0:1], 0x0
	s_load_b128 s[24:27], s[0:1], 0x1c
	s_load_b32 s61, s[0:1], 0x2c
	s_load_b64 s[44:45], s[0:1], 0x30
	v_dual_mul_f32 v0, 0x4f7ffffe, v0 :: v_dual_mul_f32 v1, 0x4f7ffffe, v1
	v_cvt_u32_f32_e32 v5, v5
	s_mul_i32 s62, s2, s48
	s_waitcnt_depctr 0xfff
	v_mul_f32_e32 v4, 0x4f7ffffe, v4
	v_cvt_u32_f32_e32 v0, v0
	v_cvt_u32_f32_e32 v1, v1
	s_ashr_i32 s63, s34, 31
	s_ashr_i32 s64, s23, 31
	v_cvt_u32_f32_e32 v4, v4
	v_mul_lo_u32 v7, s28, v0
	v_mul_lo_u32 v8, s29, v1
	s_sub_i32 s28, 0, s3
	s_sub_i32 s29, 0, s16
	v_mul_lo_u32 v9, s28, v4
	s_sub_i32 s28, 0, s60
	v_mul_lo_u32 v10, s29, v5
	s_ashr_i32 s65, s22, 31
	v_mul_hi_u32 v7, v0, v7
	v_mul_hi_u32 v8, v1, v8
	v_mul_f32_e32 v6, 0x4f7ffffe, v6
	s_ashr_i32 s66, s49, 31
	v_mul_hi_u32 v9, v4, v9
	s_lshl_b64 s[48:49], s[38:39], 1
	v_mul_hi_u32 v13, v5, v10
	v_cvt_u32_f32_e32 v6, v6
	v_add_nc_u32_e32 v10, v0, v7
	s_lshl_b64 s[50:51], s[50:51], 1
	s_lshl_b64 s[52:53], s[52:53], 1
	s_delay_alu instid0(VALU_DEP_2)
	v_mul_lo_u32 v11, s28, v6
	s_clause 0x1
	s_load_b64 s[46:47], s[0:1], 0x60
	s_load_b128 s[28:31], s[0:1], 0x50
	v_add_nc_u32_e32 v12, v4, v9
	v_add_nc_u32_e32 v13, v5, v13
	s_delay_alu instid0(VALU_DEP_3) | instskip(SKIP_1) | instid1(VALU_DEP_2)
	v_mul_hi_u32 v14, v6, v11
	v_add_nc_u32_e32 v11, v1, v8
	v_add_nc_u32_e32 v14, v6, v14
	s_branch .LBB11_3
.LBB11_2:                               ;   in Loop: Header=BB11_3 Depth=1
	v_mul_lo_u32 v4, v18, s35
	s_waitcnt lgkmcnt(0)
	v_mul_lo_u32 v0, s28, v0
	v_bfe_u32 v1, v19, 16, 1
	v_mul_lo_u32 v6, s29, v17
	v_mul_lo_u32 v8, s30, v16
	;; [unrolled: 1-line block ×3, first 2 shown]
	s_delay_alu instid0(VALU_DEP_4) | instskip(SKIP_3) | instid1(VALU_DEP_4)
	v_add3_u32 v17, v19, v1, 0x7fff
	v_ashrrev_i32_e32 v5, 31, v4
	v_ashrrev_i32_e32 v1, 31, v0
	;; [unrolled: 1-line block ×3, first 2 shown]
	v_lshrrev_b32_e32 v17, 16, v17
	s_delay_alu instid0(VALU_DEP_4) | instskip(NEXT) | instid1(VALU_DEP_4)
	v_lshlrev_b64 v[4:5], 1, v[4:5]
	v_lshlrev_b64 v[0:1], 1, v[0:1]
	v_ashrrev_i32_e32 v9, 31, v8
	v_ashrrev_i32_e32 v16, 31, v15
	s_delay_alu instid0(VALU_DEP_4) | instskip(SKIP_2) | instid1(VALU_DEP_3)
	v_add_co_u32 v18, vcc_lo, s44, v4
	v_add_co_ci_u32_e32 v20, vcc_lo, s45, v5, vcc_lo
	v_lshlrev_b64 v[4:5], 1, v[6:7]
	v_add_co_u32 v0, vcc_lo, v18, v0
	s_delay_alu instid0(VALU_DEP_3) | instskip(SKIP_2) | instid1(VALU_DEP_4)
	v_add_co_ci_u32_e32 v1, vcc_lo, v20, v1, vcc_lo
	v_cmp_o_f32_e32 vcc_lo, v19, v19
	v_cndmask_b32_e32 v6, 0x7fc0, v17, vcc_lo
	v_add_co_u32 v7, vcc_lo, v0, v4
	s_delay_alu instid0(VALU_DEP_4) | instskip(SKIP_4) | instid1(VALU_DEP_4)
	v_add_co_ci_u32_e32 v17, vcc_lo, v1, v5, vcc_lo
	v_lshlrev_b64 v[0:1], 1, v[8:9]
	v_add_co_u32 v2, vcc_lo, v2, s62
	v_lshlrev_b64 v[4:5], 1, v[15:16]
	v_add_co_ci_u32_e32 v3, vcc_lo, 0, v3, vcc_lo
	v_add_co_u32 v0, vcc_lo, v7, v0
	v_add_co_ci_u32_e32 v1, vcc_lo, v17, v1, vcc_lo
	s_delay_alu instid0(VALU_DEP_3) | instskip(NEXT) | instid1(VALU_DEP_3)
	v_cmp_le_i64_e32 vcc_lo, s[36:37], v[2:3]
	v_add_co_u32 v0, s0, v0, v4
	s_delay_alu instid0(VALU_DEP_1)
	v_add_co_ci_u32_e64 v1, s0, v1, v5, s0
	s_or_b32 s59, vcc_lo, s59
	global_store_b16 v[0:1], v6, off
	s_and_not1_b32 exec_lo, exec_lo, s59
	s_cbranch_execz .LBB11_17
.LBB11_3:                               ; =>This Loop Header: Depth=1
                                        ;     Child Loop BB11_6 Depth 2
                                        ;       Child Loop BB11_9 Depth 3
                                        ;         Child Loop BB11_12 Depth 4
	v_sub_nc_u32_e32 v0, 0, v2
	s_delay_alu instid0(VALU_DEP_1) | instskip(NEXT) | instid1(VALU_DEP_1)
	v_max_i32_e32 v0, v2, v0
	v_mul_hi_u32 v1, v0, v10
	s_delay_alu instid0(VALU_DEP_1) | instskip(NEXT) | instid1(VALU_DEP_1)
	v_mul_lo_u32 v4, v1, s57
	v_sub_nc_u32_e32 v0, v0, v4
	v_add_nc_u32_e32 v4, 1, v1
	s_delay_alu instid0(VALU_DEP_2) | instskip(SKIP_1) | instid1(VALU_DEP_2)
	v_subrev_nc_u32_e32 v5, s57, v0
	v_cmp_le_u32_e32 vcc_lo, s57, v0
	v_dual_cndmask_b32 v1, v1, v4 :: v_dual_cndmask_b32 v0, v0, v5
	v_ashrrev_i32_e32 v4, 31, v2
	s_delay_alu instid0(VALU_DEP_2) | instskip(NEXT) | instid1(VALU_DEP_3)
	v_add_nc_u32_e32 v5, 1, v1
	v_cmp_le_u32_e32 vcc_lo, s57, v0
	s_delay_alu instid0(VALU_DEP_3) | instskip(NEXT) | instid1(VALU_DEP_3)
	v_xor_b32_e32 v4, s63, v4
	v_cndmask_b32_e32 v0, v1, v5, vcc_lo
	s_delay_alu instid0(VALU_DEP_1) | instskip(NEXT) | instid1(VALU_DEP_1)
	v_xor_b32_e32 v0, v0, v4
	v_sub_nc_u32_e32 v1, v0, v4
	s_delay_alu instid0(VALU_DEP_1) | instskip(NEXT) | instid1(VALU_DEP_1)
	v_sub_nc_u32_e32 v0, 0, v1
	v_max_i32_e32 v0, v1, v0
	s_delay_alu instid0(VALU_DEP_1) | instskip(NEXT) | instid1(VALU_DEP_1)
	v_mul_hi_u32 v4, v0, v11
	v_mul_lo_u32 v5, v4, s58
	s_delay_alu instid0(VALU_DEP_1) | instskip(SKIP_1) | instid1(VALU_DEP_2)
	v_sub_nc_u32_e32 v0, v0, v5
	v_add_nc_u32_e32 v5, 1, v4
	v_subrev_nc_u32_e32 v6, s58, v0
	v_cmp_le_u32_e32 vcc_lo, s58, v0
	s_delay_alu instid0(VALU_DEP_3) | instskip(NEXT) | instid1(VALU_DEP_3)
	v_cndmask_b32_e32 v4, v4, v5, vcc_lo
	v_cndmask_b32_e32 v0, v0, v6, vcc_lo
	v_ashrrev_i32_e32 v5, 31, v1
	s_delay_alu instid0(VALU_DEP_3) | instskip(NEXT) | instid1(VALU_DEP_3)
	v_add_nc_u32_e32 v6, 1, v4
	v_cmp_le_u32_e32 vcc_lo, s58, v0
	s_delay_alu instid0(VALU_DEP_3) | instskip(NEXT) | instid1(VALU_DEP_3)
	v_xor_b32_e32 v5, s64, v5
	v_cndmask_b32_e32 v0, v4, v6, vcc_lo
	s_delay_alu instid0(VALU_DEP_1) | instskip(NEXT) | instid1(VALU_DEP_1)
	v_xor_b32_e32 v0, v0, v5
	v_sub_nc_u32_e32 v4, v0, v5
	s_delay_alu instid0(VALU_DEP_1) | instskip(NEXT) | instid1(VALU_DEP_1)
	v_sub_nc_u32_e32 v0, 0, v4
	v_max_i32_e32 v0, v4, v0
	s_delay_alu instid0(VALU_DEP_1) | instskip(NEXT) | instid1(VALU_DEP_1)
	v_mul_hi_u32 v5, v0, v12
	v_mul_lo_u32 v6, v5, s3
	s_delay_alu instid0(VALU_DEP_1) | instskip(SKIP_1) | instid1(VALU_DEP_2)
	v_sub_nc_u32_e32 v0, v0, v6
	v_add_nc_u32_e32 v6, 1, v5
	v_subrev_nc_u32_e32 v7, s3, v0
	v_cmp_le_u32_e32 vcc_lo, s3, v0
	s_delay_alu instid0(VALU_DEP_2) | instskip(SKIP_1) | instid1(VALU_DEP_2)
	v_dual_cndmask_b32 v5, v5, v6 :: v_dual_cndmask_b32 v0, v0, v7
	v_ashrrev_i32_e32 v6, 31, v4
	v_add_nc_u32_e32 v7, 1, v5
	s_delay_alu instid0(VALU_DEP_3) | instskip(NEXT) | instid1(VALU_DEP_3)
	v_cmp_le_u32_e32 vcc_lo, s3, v0
	v_xor_b32_e32 v6, s65, v6
	s_delay_alu instid0(VALU_DEP_3) | instskip(NEXT) | instid1(VALU_DEP_1)
	v_cndmask_b32_e32 v0, v5, v7, vcc_lo
	v_xor_b32_e32 v0, v0, v6
	s_delay_alu instid0(VALU_DEP_1) | instskip(NEXT) | instid1(VALU_DEP_1)
	v_sub_nc_u32_e32 v0, v0, v6
	v_sub_nc_u32_e32 v5, 0, v0
	s_delay_alu instid0(VALU_DEP_1) | instskip(NEXT) | instid1(VALU_DEP_1)
	v_max_i32_e32 v5, v0, v5
	v_mul_hi_u32 v6, v5, v13
	s_delay_alu instid0(VALU_DEP_1) | instskip(NEXT) | instid1(VALU_DEP_1)
	v_mul_lo_u32 v7, v6, s16
	v_sub_nc_u32_e32 v5, v5, v7
	v_add_nc_u32_e32 v7, 1, v6
	s_delay_alu instid0(VALU_DEP_2) | instskip(SKIP_1) | instid1(VALU_DEP_2)
	v_subrev_nc_u32_e32 v8, s16, v5
	v_cmp_le_u32_e32 vcc_lo, s16, v5
	v_dual_cndmask_b32 v6, v6, v7 :: v_dual_cndmask_b32 v5, v5, v8
	v_ashrrev_i32_e32 v7, 31, v0
	s_delay_alu instid0(VALU_DEP_2) | instskip(NEXT) | instid1(VALU_DEP_3)
	v_add_nc_u32_e32 v8, 1, v6
	v_cmp_le_u32_e32 vcc_lo, s16, v5
	s_delay_alu instid0(VALU_DEP_3) | instskip(NEXT) | instid1(VALU_DEP_3)
	v_xor_b32_e32 v7, s20, v7
	v_cndmask_b32_e32 v5, v6, v8, vcc_lo
	v_mul_lo_u32 v6, v1, s34
	v_mul_lo_u32 v8, v0, s22
	s_and_not1_b32 vcc_lo, exec_lo, s33
	s_delay_alu instid0(VALU_DEP_3) | instskip(NEXT) | instid1(VALU_DEP_3)
	v_xor_b32_e32 v5, v5, v7
	v_sub_nc_u32_e32 v15, v2, v6
	s_delay_alu instid0(VALU_DEP_2) | instskip(SKIP_2) | instid1(VALU_DEP_3)
	v_sub_nc_u32_e32 v18, v5, v7
	v_mul_lo_u32 v7, v4, s23
	v_sub_nc_u32_e32 v17, v4, v8
	v_mul_lo_u32 v5, v18, s21
	s_delay_alu instid0(VALU_DEP_3) | instskip(NEXT) | instid1(VALU_DEP_2)
	v_sub_nc_u32_e32 v16, v1, v7
	v_sub_nc_u32_e32 v0, v0, v5
	s_delay_alu instid0(VALU_DEP_1)
	v_ashrrev_i32_e32 v1, 31, v0
	s_cbranch_vccnz .LBB11_14
; %bb.4:                                ;   in Loop: Header=BB11_3 Depth=1
	v_sub_nc_u32_e32 v4, 0, v0
	v_mul_lo_u32 v9, v16, s5
	v_mul_lo_u32 v19, v15, s6
	v_mul_lo_u32 v8, s15, v0
	s_mov_b32 s39, 0
	v_max_i32_e32 v4, v0, v4
	s_delay_alu instid0(VALU_DEP_3) | instskip(NEXT) | instid1(VALU_DEP_2)
	v_subrev_nc_u32_e32 v20, s9, v19
	v_mul_hi_u32 v5, v4, v14
	s_waitcnt lgkmcnt(0)
	s_delay_alu instid0(VALU_DEP_2) | instskip(NEXT) | instid1(VALU_DEP_2)
	v_mul_lo_u32 v27, s61, v20
	v_mul_lo_u32 v6, v5, s60
	s_delay_alu instid0(VALU_DEP_2) | instskip(NEXT) | instid1(VALU_DEP_2)
	v_ashrrev_i32_e32 v28, 31, v27
	v_sub_nc_u32_e32 v4, v4, v6
	v_add_nc_u32_e32 v6, 1, v5
	s_delay_alu instid0(VALU_DEP_2) | instskip(SKIP_1) | instid1(VALU_DEP_2)
	v_subrev_nc_u32_e32 v7, s60, v4
	v_cmp_le_u32_e32 vcc_lo, s60, v4
	v_dual_cndmask_b32 v5, v5, v6 :: v_dual_cndmask_b32 v4, v4, v7
	v_xor_b32_e32 v7, s66, v1
	s_delay_alu instid0(VALU_DEP_2) | instskip(NEXT) | instid1(VALU_DEP_3)
	v_add_nc_u32_e32 v6, 1, v5
	v_cmp_le_u32_e32 vcc_lo, s60, v4
	s_delay_alu instid0(VALU_DEP_2) | instskip(SKIP_2) | instid1(VALU_DEP_3)
	v_cndmask_b32_e32 v4, v5, v6, vcc_lo
	v_mul_lo_u32 v5, v17, s4
	v_mul_lo_u32 v6, s24, v18
	v_xor_b32_e32 v4, v4, v7
	s_delay_alu instid0(VALU_DEP_1) | instskip(NEXT) | instid1(VALU_DEP_4)
	v_sub_nc_u32_e32 v7, v4, v7
	v_subrev_nc_u32_e32 v4, s7, v5
	v_subrev_nc_u32_e32 v5, s8, v9
	v_ashrrev_i32_e32 v9, 31, v8
	s_delay_alu instid0(VALU_DEP_4) | instskip(SKIP_4) | instid1(VALU_DEP_4)
	v_mul_lo_u32 v21, s25, v7
	v_ashrrev_i32_e32 v7, 31, v6
	v_mul_lo_u32 v23, s26, v4
	v_mul_lo_u32 v25, s27, v5
	v_lshlrev_b64 v[8:9], 1, v[8:9]
	v_lshlrev_b64 v[6:7], 1, v[6:7]
	v_ashrrev_i32_e32 v22, 31, v21
	v_ashrrev_i32_e32 v24, 31, v23
	;; [unrolled: 1-line block ×3, first 2 shown]
	s_delay_alu instid0(VALU_DEP_4) | instskip(NEXT) | instid1(VALU_DEP_4)
	v_add_co_u32 v19, vcc_lo, s42, v6
	v_lshlrev_b64 v[21:22], 1, v[21:22]
	v_add_co_ci_u32_e32 v29, vcc_lo, s43, v7, vcc_lo
	v_lshlrev_b64 v[6:7], 1, v[23:24]
	s_delay_alu instid0(VALU_DEP_3) | instskip(NEXT) | instid1(VALU_DEP_3)
	v_add_co_u32 v19, vcc_lo, v19, v21
	v_add_co_ci_u32_e32 v23, vcc_lo, v29, v22, vcc_lo
	v_lshlrev_b64 v[21:22], 1, v[25:26]
	s_delay_alu instid0(VALU_DEP_3) | instskip(NEXT) | instid1(VALU_DEP_3)
	v_add_co_u32 v6, vcc_lo, v19, v6
	;; [unrolled: 4-line block ×3, first 2 shown]
	v_add_co_ci_u32_e32 v21, vcc_lo, v7, v22, vcc_lo
	v_add_co_u32 v6, vcc_lo, s46, v8
	v_add_co_ci_u32_e32 v7, vcc_lo, s47, v9, vcc_lo
	s_delay_alu instid0(VALU_DEP_4) | instskip(NEXT) | instid1(VALU_DEP_4)
	v_add_co_u32 v8, vcc_lo, v19, v23
	v_add_co_ci_u32_e32 v9, vcc_lo, v21, v24, vcc_lo
	v_mov_b32_e32 v19, 0
	s_branch .LBB11_6
.LBB11_5:                               ;   in Loop: Header=BB11_6 Depth=2
	s_set_inst_prefetch_distance 0x2
	v_add_co_u32 v8, vcc_lo, v8, s52
	v_add_co_ci_u32_e32 v9, vcc_lo, s53, v9, vcc_lo
	s_add_i32 s39, s39, 1
	s_delay_alu instid0(SALU_CYCLE_1)
	s_cmp_eq_u32 s39, s12
	s_cbranch_scc1 .LBB11_15
.LBB11_6:                               ;   Parent Loop BB11_3 Depth=1
                                        ; =>  This Loop Header: Depth=2
                                        ;       Child Loop BB11_9 Depth 3
                                        ;         Child Loop BB11_12 Depth 4
	s_and_not1_b32 vcc_lo, exec_lo, s54
	s_cbranch_vccnz .LBB11_5
; %bb.7:                                ;   in Loop: Header=BB11_6 Depth=2
	v_mad_u64_u32 v[21:22], null, s39, s10, v[4:5]
	s_mov_b32 s67, 0
	s_delay_alu instid0(VALU_DEP_1)
	v_cmp_lt_i32_e64 s0, -1, v21
	v_cmp_gt_i32_e64 s1, s17, v21
	s_set_inst_prefetch_distance 0x1
	s_branch .LBB11_9
	.p2align	6
.LBB11_8:                               ;   in Loop: Header=BB11_9 Depth=3
	v_add_co_u32 v8, vcc_lo, v8, s50
	v_add_co_ci_u32_e32 v9, vcc_lo, s51, v9, vcc_lo
	s_add_i32 s67, s67, 1
	s_delay_alu instid0(SALU_CYCLE_1)
	s_cmp_eq_u32 s67, s13
	s_cbranch_scc1 .LBB11_5
.LBB11_9:                               ;   Parent Loop BB11_3 Depth=1
                                        ;     Parent Loop BB11_6 Depth=2
                                        ; =>    This Loop Header: Depth=3
                                        ;         Child Loop BB11_12 Depth 4
	s_and_not1_b32 vcc_lo, exec_lo, s55
	s_cbranch_vccnz .LBB11_8
; %bb.10:                               ;   in Loop: Header=BB11_9 Depth=3
	v_mad_u64_u32 v[22:23], null, s67, s11, v[5:6]
	v_mov_b32_e32 v21, v20
	s_mov_b32 s69, s14
	s_delay_alu instid0(VALU_DEP_2) | instskip(SKIP_1) | instid1(VALU_DEP_2)
	v_cmp_lt_i32_e64 s2, -1, v22
	v_cmp_gt_i32_e32 vcc_lo, s18, v22
	s_and_b32 s68, s0, s2
	s_branch .LBB11_12
	.p2align	6
.LBB11_11:                              ;   in Loop: Header=BB11_12 Depth=4
	s_or_b32 exec_lo, exec_lo, s2
	v_add_co_u32 v6, s2, v6, 2
	s_delay_alu instid0(VALU_DEP_1) | instskip(SKIP_4) | instid1(SALU_CYCLE_1)
	v_add_co_ci_u32_e64 v7, s2, 0, v7, s2
	v_add_co_u32 v8, s2, v8, s48
	v_add_nc_u32_e32 v21, s38, v21
	v_add_co_ci_u32_e64 v9, s2, s49, v9, s2
	s_add_i32 s69, s69, -1
	s_cmp_eq_u32 s69, 0
	s_cbranch_scc1 .LBB11_8
.LBB11_12:                              ;   Parent Loop BB11_3 Depth=1
                                        ;     Parent Loop BB11_6 Depth=2
                                        ;       Parent Loop BB11_9 Depth=3
                                        ; =>      This Inner Loop Header: Depth=4
	v_cmp_lt_i32_e64 s2, -1, v21
	s_delay_alu instid0(VALU_DEP_1) | instskip(SKIP_2) | instid1(SALU_CYCLE_1)
	s_and_b32 s70, s68, s2
	v_cmp_gt_i32_e64 s2, s19, v21
	s_and_b32 s70, s70, s1
	s_and_b32 s70, s70, vcc_lo
	s_delay_alu instid0(VALU_DEP_1) | instid1(SALU_CYCLE_1)
	s_and_b32 s70, s70, s2
	s_delay_alu instid0(SALU_CYCLE_1)
	s_and_saveexec_b32 s2, s70
	s_cbranch_execz .LBB11_11
; %bb.13:                               ;   in Loop: Header=BB11_12 Depth=4
	global_load_u16 v22, v[8:9], off
	global_load_u16 v23, v[6:7], off
	s_waitcnt vmcnt(1)
	v_lshlrev_b32_e32 v22, 16, v22
	s_waitcnt vmcnt(0)
	v_lshlrev_b32_e32 v23, 16, v23
	s_delay_alu instid0(VALU_DEP_1)
	v_fmac_f32_e32 v19, v23, v22
	s_branch .LBB11_11
.LBB11_14:                              ;   in Loop: Header=BB11_3 Depth=1
	v_mov_b32_e32 v19, 0
.LBB11_15:                              ;   in Loop: Header=BB11_3 Depth=1
	s_and_b32 vcc_lo, exec_lo, s56
	s_cbranch_vccz .LBB11_2
; %bb.16:                               ;   in Loop: Header=BB11_3 Depth=1
	v_lshlrev_b64 v[4:5], 1, v[0:1]
	s_delay_alu instid0(VALU_DEP_1) | instskip(NEXT) | instid1(VALU_DEP_2)
	v_add_co_u32 v4, vcc_lo, s40, v4
	v_add_co_ci_u32_e32 v5, vcc_lo, s41, v5, vcc_lo
	global_load_u16 v1, v[4:5], off
	s_waitcnt vmcnt(0)
	v_lshlrev_b32_e32 v1, 16, v1
	s_delay_alu instid0(VALU_DEP_1)
	v_add_f32_e32 v19, v19, v1
	s_branch .LBB11_2
.LBB11_17:
	s_nop 0
	s_sendmsg sendmsg(MSG_DEALLOC_VGPRS)
	s_endpgm
	.section	.rodata,"a",@progbits
	.p2align	6, 0x0
	.amdhsa_kernel _ZN2at6native12_GLOBAL__N_128conv_depthwise3d_cuda_kernelIN3c108BFloat16EfLin1ELin1ELin1ELin1ELin1ELin1EEEvN5torch10headeronly6detail27GenericPackedTensorAccessorINS7_14TensorAccessorINS3_8ArrayRefIlEEKT_Lm4ENS6_16DefaultPtrTraitsEiEENS_6detail16IndexBoundsCheckILm5EiEESD_Lm5ESE_iEENS8_INS9_ISB_SC_Lm4ESE_iEESI_SC_Lm5ESE_iEESJ_PSD_iiiiiiiii
		.amdhsa_group_segment_fixed_size 0
		.amdhsa_private_segment_fixed_size 0
		.amdhsa_kernarg_size 448
		.amdhsa_user_sgpr_count 15
		.amdhsa_user_sgpr_dispatch_ptr 0
		.amdhsa_user_sgpr_queue_ptr 0
		.amdhsa_user_sgpr_kernarg_segment_ptr 1
		.amdhsa_user_sgpr_dispatch_id 0
		.amdhsa_user_sgpr_private_segment_size 0
		.amdhsa_wavefront_size32 1
		.amdhsa_uses_dynamic_stack 0
		.amdhsa_enable_private_segment 0
		.amdhsa_system_sgpr_workgroup_id_x 1
		.amdhsa_system_sgpr_workgroup_id_y 0
		.amdhsa_system_sgpr_workgroup_id_z 0
		.amdhsa_system_sgpr_workgroup_info 0
		.amdhsa_system_vgpr_workitem_id 0
		.amdhsa_next_free_vgpr 30
		.amdhsa_next_free_sgpr 71
		.amdhsa_reserve_vcc 1
		.amdhsa_float_round_mode_32 0
		.amdhsa_float_round_mode_16_64 0
		.amdhsa_float_denorm_mode_32 3
		.amdhsa_float_denorm_mode_16_64 3
		.amdhsa_dx10_clamp 1
		.amdhsa_ieee_mode 1
		.amdhsa_fp16_overflow 0
		.amdhsa_workgroup_processor_mode 1
		.amdhsa_memory_ordered 1
		.amdhsa_forward_progress 0
		.amdhsa_shared_vgpr_count 0
		.amdhsa_exception_fp_ieee_invalid_op 0
		.amdhsa_exception_fp_denorm_src 0
		.amdhsa_exception_fp_ieee_div_zero 0
		.amdhsa_exception_fp_ieee_overflow 0
		.amdhsa_exception_fp_ieee_underflow 0
		.amdhsa_exception_fp_ieee_inexact 0
		.amdhsa_exception_int_div_zero 0
	.end_amdhsa_kernel
	.section	.text._ZN2at6native12_GLOBAL__N_128conv_depthwise3d_cuda_kernelIN3c108BFloat16EfLin1ELin1ELin1ELin1ELin1ELin1EEEvN5torch10headeronly6detail27GenericPackedTensorAccessorINS7_14TensorAccessorINS3_8ArrayRefIlEEKT_Lm4ENS6_16DefaultPtrTraitsEiEENS_6detail16IndexBoundsCheckILm5EiEESD_Lm5ESE_iEENS8_INS9_ISB_SC_Lm4ESE_iEESI_SC_Lm5ESE_iEESJ_PSD_iiiiiiiii,"axG",@progbits,_ZN2at6native12_GLOBAL__N_128conv_depthwise3d_cuda_kernelIN3c108BFloat16EfLin1ELin1ELin1ELin1ELin1ELin1EEEvN5torch10headeronly6detail27GenericPackedTensorAccessorINS7_14TensorAccessorINS3_8ArrayRefIlEEKT_Lm4ENS6_16DefaultPtrTraitsEiEENS_6detail16IndexBoundsCheckILm5EiEESD_Lm5ESE_iEENS8_INS9_ISB_SC_Lm4ESE_iEESI_SC_Lm5ESE_iEESJ_PSD_iiiiiiiii,comdat
.Lfunc_end11:
	.size	_ZN2at6native12_GLOBAL__N_128conv_depthwise3d_cuda_kernelIN3c108BFloat16EfLin1ELin1ELin1ELin1ELin1ELin1EEEvN5torch10headeronly6detail27GenericPackedTensorAccessorINS7_14TensorAccessorINS3_8ArrayRefIlEEKT_Lm4ENS6_16DefaultPtrTraitsEiEENS_6detail16IndexBoundsCheckILm5EiEESD_Lm5ESE_iEENS8_INS9_ISB_SC_Lm4ESE_iEESI_SC_Lm5ESE_iEESJ_PSD_iiiiiiiii, .Lfunc_end11-_ZN2at6native12_GLOBAL__N_128conv_depthwise3d_cuda_kernelIN3c108BFloat16EfLin1ELin1ELin1ELin1ELin1ELin1EEEvN5torch10headeronly6detail27GenericPackedTensorAccessorINS7_14TensorAccessorINS3_8ArrayRefIlEEKT_Lm4ENS6_16DefaultPtrTraitsEiEENS_6detail16IndexBoundsCheckILm5EiEESD_Lm5ESE_iEENS8_INS9_ISB_SC_Lm4ESE_iEESI_SC_Lm5ESE_iEESJ_PSD_iiiiiiiii
                                        ; -- End function
	.section	.AMDGPU.csdata,"",@progbits
; Kernel info:
; codeLenInByte = 2196
; NumSgprs: 73
; NumVgprs: 30
; ScratchSize: 0
; MemoryBound: 0
; FloatMode: 240
; IeeeMode: 1
; LDSByteSize: 0 bytes/workgroup (compile time only)
; SGPRBlocks: 9
; VGPRBlocks: 3
; NumSGPRsForWavesPerEU: 73
; NumVGPRsForWavesPerEU: 30
; Occupancy: 16
; WaveLimiterHint : 0
; COMPUTE_PGM_RSRC2:SCRATCH_EN: 0
; COMPUTE_PGM_RSRC2:USER_SGPR: 15
; COMPUTE_PGM_RSRC2:TRAP_HANDLER: 0
; COMPUTE_PGM_RSRC2:TGID_X_EN: 1
; COMPUTE_PGM_RSRC2:TGID_Y_EN: 0
; COMPUTE_PGM_RSRC2:TGID_Z_EN: 0
; COMPUTE_PGM_RSRC2:TIDIG_COMP_CNT: 0
	.section	.text._ZN2at6native12_GLOBAL__N_143conv_depthwise3d_cuda_backward_input_kernelIddLi3ELi3ELi3ELi1ELi1ELi1ELi1ELi1ELi1EEEvN5torch10headeronly6detail27GenericPackedTensorAccessorINS5_14TensorAccessorIN3c108ArrayRefIlEEKT_Lm4ENS4_16DefaultPtrTraitsEiEENS_6detail16IndexBoundsCheckILm5EiEESC_Lm5ESD_iEENS6_INS7_ISA_SB_Lm4ESD_iEESH_SB_Lm5ESD_iEESI_iiiiiiiii,"axG",@progbits,_ZN2at6native12_GLOBAL__N_143conv_depthwise3d_cuda_backward_input_kernelIddLi3ELi3ELi3ELi1ELi1ELi1ELi1ELi1ELi1EEEvN5torch10headeronly6detail27GenericPackedTensorAccessorINS5_14TensorAccessorIN3c108ArrayRefIlEEKT_Lm4ENS4_16DefaultPtrTraitsEiEENS_6detail16IndexBoundsCheckILm5EiEESC_Lm5ESD_iEENS6_INS7_ISA_SB_Lm4ESD_iEESH_SB_Lm5ESD_iEESI_iiiiiiiii,comdat
	.globl	_ZN2at6native12_GLOBAL__N_143conv_depthwise3d_cuda_backward_input_kernelIddLi3ELi3ELi3ELi1ELi1ELi1ELi1ELi1ELi1EEEvN5torch10headeronly6detail27GenericPackedTensorAccessorINS5_14TensorAccessorIN3c108ArrayRefIlEEKT_Lm4ENS4_16DefaultPtrTraitsEiEENS_6detail16IndexBoundsCheckILm5EiEESC_Lm5ESD_iEENS6_INS7_ISA_SB_Lm4ESD_iEESH_SB_Lm5ESD_iEESI_iiiiiiiii ; -- Begin function _ZN2at6native12_GLOBAL__N_143conv_depthwise3d_cuda_backward_input_kernelIddLi3ELi3ELi3ELi1ELi1ELi1ELi1ELi1ELi1EEEvN5torch10headeronly6detail27GenericPackedTensorAccessorINS5_14TensorAccessorIN3c108ArrayRefIlEEKT_Lm4ENS4_16DefaultPtrTraitsEiEENS_6detail16IndexBoundsCheckILm5EiEESC_Lm5ESD_iEENS6_INS7_ISA_SB_Lm4ESD_iEESH_SB_Lm5ESD_iEESI_iiiiiiiii
	.p2align	8
	.type	_ZN2at6native12_GLOBAL__N_143conv_depthwise3d_cuda_backward_input_kernelIddLi3ELi3ELi3ELi1ELi1ELi1ELi1ELi1ELi1EEEvN5torch10headeronly6detail27GenericPackedTensorAccessorINS5_14TensorAccessorIN3c108ArrayRefIlEEKT_Lm4ENS4_16DefaultPtrTraitsEiEENS_6detail16IndexBoundsCheckILm5EiEESC_Lm5ESD_iEENS6_INS7_ISA_SB_Lm4ESD_iEESH_SB_Lm5ESD_iEESI_iiiiiiiii,@function
_ZN2at6native12_GLOBAL__N_143conv_depthwise3d_cuda_backward_input_kernelIddLi3ELi3ELi3ELi1ELi1ELi1ELi1ELi1ELi1EEEvN5torch10headeronly6detail27GenericPackedTensorAccessorINS5_14TensorAccessorIN3c108ArrayRefIlEEKT_Lm4ENS4_16DefaultPtrTraitsEiEENS_6detail16IndexBoundsCheckILm5EiEESC_Lm5ESD_iEENS6_INS7_ISA_SB_Lm4ESD_iEESH_SB_Lm5ESD_iEESI_iiiiiiiii: ; @_ZN2at6native12_GLOBAL__N_143conv_depthwise3d_cuda_backward_input_kernelIddLi3ELi3ELi3ELi1ELi1ELi1ELi1ELi1ELi1EEEvN5torch10headeronly6detail27GenericPackedTensorAccessorINS5_14TensorAccessorIN3c108ArrayRefIlEEKT_Lm4ENS4_16DefaultPtrTraitsEiEENS_6detail16IndexBoundsCheckILm5EiEESC_Lm5ESD_iEENS6_INS7_ISA_SB_Lm4ESD_iEESH_SB_Lm5ESD_iEESI_iiiiiiiii
; %bb.0:
	s_clause 0x2
	s_load_b128 s[8:11], s[0:1], 0x38
	s_load_b32 s4, s[0:1], 0xc4
	s_load_b64 s[24:25], s[0:1], 0x48
	s_mov_b32 s6, exec_lo
	s_waitcnt lgkmcnt(0)
	s_abs_i32 s7, s9
	s_add_u32 s2, s0, 0xb8
	v_cvt_f32_u32_e32 v1, s7
	s_addc_u32 s3, s1, 0
	s_and_b32 s4, s4, 0xffff
	s_mul_i32 s26, s25, s8
	s_delay_alu instid0(SALU_CYCLE_1) | instskip(SKIP_3) | instid1(VALU_DEP_1)
	s_ashr_i32 s27, s26, 31
	v_rcp_iflag_f32_e32 v2, v1
	s_waitcnt_depctr 0xfff
	v_dual_mov_b32 v1, 0 :: v_dual_mul_f32 v4, 0x4f7ffffe, v2
	v_mad_u64_u32 v[2:3], null, s4, s15, v[0:1]
	s_delay_alu instid0(VALU_DEP_2) | instskip(NEXT) | instid1(VALU_DEP_1)
	v_cvt_u32_f32_e32 v0, v4
	v_readfirstlane_b32 s5, v0
	s_delay_alu instid0(VALU_DEP_3)
	v_cmpx_gt_i64_e64 s[26:27], v[2:3]
	s_cbranch_execz .LBB12_60
; %bb.1:
	s_clause 0x1
	s_load_b128 s[12:15], s[0:1], 0xc
	s_load_b64 s[28:29], s[0:1], 0x0
	s_sub_i32 s6, 0, s7
	s_mov_b32 s39, 0
	s_mul_i32 s8, s6, s5
	v_mul_lo_u32 v6, s6, v0
	s_mul_hi_u32 s8, s5, s8
	s_delay_alu instid0(SALU_CYCLE_1) | instskip(SKIP_1) | instid1(VALU_DEP_1)
	s_add_i32 s5, s5, s8
	s_ashr_i32 s8, s9, 31
	v_mul_hi_u32 v6, v0, v6
	s_waitcnt lgkmcnt(0)
	s_abs_i32 s16, s12
	s_ashr_i32 s12, s12, 31
	s_mul_hi_u32 s5, s16, s5
	s_xor_b32 s42, s12, s8
	s_mul_i32 s17, s5, s7
	s_delay_alu instid0(VALU_DEP_1)
	v_add_nc_u32_e32 v175, v0, v6
	s_sub_i32 s12, s16, s17
	s_add_i32 s16, s5, 1
	s_sub_i32 s17, s12, s7
	s_cmp_ge_u32 s12, s7
	s_cselect_b32 s5, s16, s5
	s_cselect_b32 s12, s17, s12
	s_add_i32 s16, s5, 1
	s_cmp_ge_u32 s12, s7
	s_cselect_b32 s5, s16, s5
	s_abs_i32 s12, s24
	s_abs_i32 s33, s11
	v_cvt_f32_u32_e32 v1, s12
	v_cvt_f32_u32_e32 v4, s33
	s_abs_i32 s38, s10
	s_load_b32 s2, s[2:3], 0x0
	s_load_b128 s[16:19], s[0:1], 0x9c
	v_cvt_f32_u32_e32 v5, s38
	v_rcp_iflag_f32_e32 v1, v1
	v_rcp_iflag_f32_e32 v4, v4
	s_sub_i32 s3, 0, s12
	s_sub_i32 s6, 0, s33
	v_rcp_iflag_f32_e32 v5, v5
	s_sub_i32 s20, 0, s38
	s_waitcnt lgkmcnt(0)
	s_clause 0x2
	s_load_b32 s19, s[0:1], 0x7c
	s_load_b64 s[30:31], s[0:1], 0x1c
	s_load_b64 s[34:35], s[0:1], 0x30
	s_ashr_i32 s41, s24, 31
	s_ashr_i32 s43, s11, 31
	;; [unrolled: 1-line block ×3, first 2 shown]
	s_waitcnt_depctr 0xfff
	v_dual_mul_f32 v1, 0x4f7ffffe, v1 :: v_dual_mul_f32 v4, 0x4f7ffffe, v4
	s_delay_alu instid0(VALU_DEP_1) | instskip(NEXT) | instid1(VALU_DEP_2)
	v_cvt_u32_f32_e32 v1, v1
	v_cvt_u32_f32_e32 v4, v4
	s_mul_i32 s40, s2, s4
	s_delay_alu instid0(VALU_DEP_2) | instskip(NEXT) | instid1(VALU_DEP_2)
	v_mul_lo_u32 v7, s3, v1
	v_mul_lo_u32 v8, s6, v4
	s_delay_alu instid0(VALU_DEP_2) | instskip(SKIP_1) | instid1(VALU_DEP_3)
	v_mul_hi_u32 v7, v1, v7
	v_mul_f32_e32 v5, 0x4f7ffffe, v5
	v_mul_hi_u32 v8, v4, v8
	s_delay_alu instid0(VALU_DEP_3) | instskip(NEXT) | instid1(VALU_DEP_3)
	v_add_nc_u32_e32 v172, v1, v7
	v_cvt_u32_f32_e32 v5, v5
	s_delay_alu instid0(VALU_DEP_3) | instskip(NEXT) | instid1(VALU_DEP_2)
	v_add_nc_u32_e32 v173, v4, v8
	v_mul_lo_u32 v9, s20, v5
	s_clause 0x1
	s_load_b64 s[36:37], s[0:1], 0x60
	s_load_b128 s[20:23], s[0:1], 0x50
	s_xor_b32 s0, s5, s42
	s_delay_alu instid0(SALU_CYCLE_1) | instskip(SKIP_3) | instid1(VALU_DEP_1)
	s_sub_i32 s42, s0, s42
	s_waitcnt lgkmcnt(0)
	s_mul_i32 s45, s31, s42
	v_mul_hi_u32 v9, v5, v9
	v_add_nc_u32_e32 v174, v5, v9
	s_branch .LBB12_3
.LBB12_2:                               ;   in Loop: Header=BB12_3 Depth=1
	s_or_b32 exec_lo, exec_lo, s46
	v_mul_lo_u32 v0, v180, s25
	v_mul_lo_u32 v6, s20, v178
	;; [unrolled: 1-line block ×4, first 2 shown]
	v_add_co_u32 v2, vcc_lo, v2, s40
	v_add_co_ci_u32_e32 v3, vcc_lo, 0, v3, vcc_lo
	v_ashrrev_i32_e32 v1, 31, v0
	v_ashrrev_i32_e32 v7, 31, v6
	;; [unrolled: 1-line block ×3, first 2 shown]
	v_mul_lo_u32 v12, s23, v176
	v_ashrrev_i32_e32 v11, 31, v10
	v_lshlrev_b64 v[0:1], 3, v[0:1]
	v_lshlrev_b64 v[6:7], 3, v[6:7]
	s_delay_alu instid0(VALU_DEP_4) | instskip(NEXT) | instid1(VALU_DEP_3)
	v_ashrrev_i32_e32 v13, 31, v12
	v_add_co_u32 v14, vcc_lo, s34, v0
	s_delay_alu instid0(VALU_DEP_4) | instskip(SKIP_1) | instid1(VALU_DEP_3)
	v_add_co_ci_u32_e32 v15, vcc_lo, s35, v1, vcc_lo
	v_lshlrev_b64 v[0:1], 3, v[8:9]
	v_add_co_u32 v8, vcc_lo, v14, v6
	s_delay_alu instid0(VALU_DEP_3) | instskip(SKIP_1) | instid1(VALU_DEP_3)
	v_add_co_ci_u32_e32 v9, vcc_lo, v15, v7, vcc_lo
	v_lshlrev_b64 v[6:7], 3, v[10:11]
	v_add_co_u32 v8, vcc_lo, v8, v0
	s_delay_alu instid0(VALU_DEP_3) | instskip(SKIP_1) | instid1(VALU_DEP_3)
	;; [unrolled: 4-line block ×3, first 2 shown]
	v_add_co_ci_u32_e32 v7, vcc_lo, v9, v7, vcc_lo
	v_cmp_le_i64_e32 vcc_lo, s[26:27], v[2:3]
	v_add_co_u32 v0, s0, v6, v0
	s_delay_alu instid0(VALU_DEP_1)
	v_add_co_ci_u32_e64 v1, s0, v7, v1, s0
	s_or_b32 s39, vcc_lo, s39
	global_store_b64 v[0:1], v[4:5], off
	s_and_not1_b32 exec_lo, exec_lo, s39
	s_cbranch_execz .LBB12_60
.LBB12_3:                               ; =>This Loop Header: Depth=1
                                        ;     Child Loop BB12_6 Depth 2
	v_sub_nc_u32_e32 v0, 0, v2
	s_mov_b32 s46, exec_lo
	s_delay_alu instid0(VALU_DEP_1) | instskip(NEXT) | instid1(VALU_DEP_1)
	v_max_i32_e32 v0, v2, v0
	v_mul_hi_u32 v1, v0, v172
	s_delay_alu instid0(VALU_DEP_1) | instskip(NEXT) | instid1(VALU_DEP_1)
	v_mul_lo_u32 v4, v1, s12
	v_sub_nc_u32_e32 v0, v0, v4
	v_add_nc_u32_e32 v4, 1, v1
	s_delay_alu instid0(VALU_DEP_2) | instskip(SKIP_1) | instid1(VALU_DEP_2)
	v_subrev_nc_u32_e32 v5, s12, v0
	v_cmp_le_u32_e32 vcc_lo, s12, v0
	v_dual_cndmask_b32 v1, v1, v4 :: v_dual_cndmask_b32 v0, v0, v5
	v_ashrrev_i32_e32 v4, 31, v2
	s_delay_alu instid0(VALU_DEP_2) | instskip(NEXT) | instid1(VALU_DEP_3)
	v_add_nc_u32_e32 v5, 1, v1
	v_cmp_le_u32_e32 vcc_lo, s12, v0
	s_delay_alu instid0(VALU_DEP_3) | instskip(NEXT) | instid1(VALU_DEP_3)
	v_xor_b32_e32 v4, s41, v4
	v_cndmask_b32_e32 v0, v1, v5, vcc_lo
	s_delay_alu instid0(VALU_DEP_1) | instskip(NEXT) | instid1(VALU_DEP_1)
	v_xor_b32_e32 v0, v0, v4
	v_sub_nc_u32_e32 v1, v0, v4
	s_delay_alu instid0(VALU_DEP_1) | instskip(NEXT) | instid1(VALU_DEP_1)
	v_sub_nc_u32_e32 v0, 0, v1
	v_max_i32_e32 v0, v1, v0
	s_delay_alu instid0(VALU_DEP_1) | instskip(NEXT) | instid1(VALU_DEP_1)
	v_mul_hi_u32 v4, v0, v173
	v_mul_lo_u32 v5, v4, s33
	s_delay_alu instid0(VALU_DEP_1) | instskip(SKIP_1) | instid1(VALU_DEP_2)
	v_sub_nc_u32_e32 v0, v0, v5
	v_add_nc_u32_e32 v5, 1, v4
	v_subrev_nc_u32_e32 v6, s33, v0
	v_cmp_le_u32_e32 vcc_lo, s33, v0
	s_delay_alu instid0(VALU_DEP_3) | instskip(NEXT) | instid1(VALU_DEP_3)
	v_cndmask_b32_e32 v4, v4, v5, vcc_lo
	v_cndmask_b32_e32 v0, v0, v6, vcc_lo
	v_ashrrev_i32_e32 v5, 31, v1
	s_delay_alu instid0(VALU_DEP_3) | instskip(NEXT) | instid1(VALU_DEP_3)
	v_add_nc_u32_e32 v6, 1, v4
	v_cmp_le_u32_e32 vcc_lo, s33, v0
	s_delay_alu instid0(VALU_DEP_3) | instskip(NEXT) | instid1(VALU_DEP_3)
	v_xor_b32_e32 v5, s43, v5
	v_cndmask_b32_e32 v0, v4, v6, vcc_lo
	s_delay_alu instid0(VALU_DEP_1) | instskip(NEXT) | instid1(VALU_DEP_1)
	v_xor_b32_e32 v0, v0, v5
	v_sub_nc_u32_e32 v4, v0, v5
	s_delay_alu instid0(VALU_DEP_1) | instskip(NEXT) | instid1(VALU_DEP_1)
	v_sub_nc_u32_e32 v0, 0, v4
	v_max_i32_e32 v0, v4, v0
	s_delay_alu instid0(VALU_DEP_1) | instskip(NEXT) | instid1(VALU_DEP_1)
	v_mul_hi_u32 v5, v0, v174
	v_mul_lo_u32 v6, v5, s38
	s_delay_alu instid0(VALU_DEP_1) | instskip(SKIP_1) | instid1(VALU_DEP_2)
	v_sub_nc_u32_e32 v0, v0, v6
	v_add_nc_u32_e32 v6, 1, v5
	v_subrev_nc_u32_e32 v7, s38, v0
	v_cmp_le_u32_e32 vcc_lo, s38, v0
	s_delay_alu instid0(VALU_DEP_2) | instskip(SKIP_1) | instid1(VALU_DEP_2)
	v_dual_cndmask_b32 v5, v5, v6 :: v_dual_cndmask_b32 v0, v0, v7
	v_ashrrev_i32_e32 v6, 31, v4
	v_add_nc_u32_e32 v7, 1, v5
	s_delay_alu instid0(VALU_DEP_3) | instskip(NEXT) | instid1(VALU_DEP_3)
	v_cmp_le_u32_e32 vcc_lo, s38, v0
	v_xor_b32_e32 v6, s44, v6
	s_delay_alu instid0(VALU_DEP_3) | instskip(NEXT) | instid1(VALU_DEP_1)
	v_cndmask_b32_e32 v0, v5, v7, vcc_lo
	v_xor_b32_e32 v0, v0, v6
	s_delay_alu instid0(VALU_DEP_1) | instskip(NEXT) | instid1(VALU_DEP_1)
	v_sub_nc_u32_e32 v5, v0, v6
	v_sub_nc_u32_e32 v0, 0, v5
	s_delay_alu instid0(VALU_DEP_1) | instskip(NEXT) | instid1(VALU_DEP_1)
	v_max_i32_e32 v0, v5, v0
	v_mul_hi_u32 v6, v0, v175
	s_delay_alu instid0(VALU_DEP_1) | instskip(NEXT) | instid1(VALU_DEP_1)
	v_mul_lo_u32 v7, v6, s7
	v_sub_nc_u32_e32 v0, v0, v7
	v_add_nc_u32_e32 v7, 1, v6
	s_delay_alu instid0(VALU_DEP_2) | instskip(SKIP_1) | instid1(VALU_DEP_3)
	v_subrev_nc_u32_e32 v8, s7, v0
	v_cmp_le_u32_e32 vcc_lo, s7, v0
	v_cndmask_b32_e32 v6, v6, v7, vcc_lo
	s_delay_alu instid0(VALU_DEP_3) | instskip(SKIP_1) | instid1(VALU_DEP_3)
	v_cndmask_b32_e32 v0, v0, v8, vcc_lo
	v_ashrrev_i32_e32 v7, 31, v5
	v_add_nc_u32_e32 v8, 1, v6
	s_delay_alu instid0(VALU_DEP_3) | instskip(NEXT) | instid1(VALU_DEP_3)
	v_cmp_le_u32_e32 vcc_lo, s7, v0
	v_xor_b32_e32 v7, s8, v7
	s_delay_alu instid0(VALU_DEP_3) | instskip(SKIP_1) | instid1(VALU_DEP_2)
	v_cndmask_b32_e32 v0, v6, v8, vcc_lo
	v_mul_lo_u32 v6, v1, s24
	v_xor_b32_e32 v0, v0, v7
	s_delay_alu instid0(VALU_DEP_2) | instskip(NEXT) | instid1(VALU_DEP_2)
	v_sub_nc_u32_e32 v176, v2, v6
	v_sub_nc_u32_e32 v180, v0, v7
	v_mul_lo_u32 v7, v4, s11
	s_delay_alu instid0(VALU_DEP_2) | instskip(NEXT) | instid1(VALU_DEP_2)
	v_mul_lo_u32 v0, v180, s9
	v_sub_nc_u32_e32 v177, v1, v7
	s_delay_alu instid0(VALU_DEP_2) | instskip(SKIP_1) | instid1(VALU_DEP_2)
	v_sub_nc_u32_e32 v178, v5, v0
	v_mul_lo_u32 v5, v5, s10
	v_mul_lo_u32 v0, v178, s42
	s_delay_alu instid0(VALU_DEP_2) | instskip(SKIP_1) | instid1(VALU_DEP_3)
	v_sub_nc_u32_e32 v179, v4, v5
	v_mov_b32_e32 v4, 0
	v_dual_mov_b32 v5, 0 :: v_dual_add_nc_u32 v8, s42, v0
	s_delay_alu instid0(VALU_DEP_1)
	v_cmpx_lt_i32_e64 v0, v8
	s_cbranch_execz .LBB12_2
; %bb.4:                                ;   in Loop: Header=BB12_3 Depth=1
	v_mul_lo_u32 v0, s19, v0
	v_add_nc_u32_e32 v9, s16, v179
	v_mul_lo_u32 v4, s30, v180
	v_add_nc_u32_e32 v10, s17, v177
	v_add_nc_u32_e32 v6, s18, v176
	s_delay_alu instid0(VALU_DEP_4) | instskip(SKIP_2) | instid1(VALU_DEP_4)
	v_mul_lo_u32 v11, v9, s14
	v_cmp_gt_i32_e64 s5, s13, v9
	v_ashrrev_i32_e32 v1, 31, v0
	v_or_b32_e32 v12, v6, v10
	v_ashrrev_i32_e32 v5, 31, v4
	v_cmp_gt_i32_e64 s4, s14, v10
	v_add_nc_u32_e32 v61, -2, v6
	v_lshlrev_b64 v[0:1], 3, v[0:1]
	v_add_nc_u32_e32 v7, v10, v11
	v_lshlrev_b64 v[4:5], 3, v[4:5]
	v_add_nc_u32_e32 v47, -1, v10
	v_add_nc_u32_e32 v8, -2, v10
	v_add_nc_u32_e32 v45, -2, v9
	v_add_co_u32 v0, vcc_lo, s36, v0
	v_mul_lo_u32 v14, v7, s15
	v_add_nc_u32_e32 v7, -1, v6
	v_add_co_ci_u32_e32 v1, vcc_lo, s37, v1, vcc_lo
	v_add_co_u32 v181, vcc_lo, s28, v4
	v_or_b32_e32 v4, v12, v9
	s_delay_alu instid0(VALU_DEP_4) | instskip(SKIP_2) | instid1(VALU_DEP_4)
	v_or_b32_e32 v13, v7, v10
	v_add_co_ci_u32_e32 v182, vcc_lo, s29, v5, vcc_lo
	v_cmp_gt_i32_e32 vcc_lo, s15, v6
	v_cmp_lt_i32_e64 s0, -1, v4
	s_delay_alu instid0(VALU_DEP_4)
	v_or_b32_e32 v15, v13, v9
	v_or_b32_e32 v17, v6, v47
	;; [unrolled: 1-line block ×4, first 2 shown]
	s_and_b32 s0, vcc_lo, s0
	v_cmp_lt_i32_e64 s1, -1, v15
	s_and_b32 s0, s0, s4
	v_or_b32_e32 v15, v61, v10
	s_and_b32 s47, s0, s5
	v_cmp_gt_i32_e64 s0, s15, v7
	v_or_b32_e32 v18, v19, v9
	v_or_b32_e32 v23, v6, v8
	v_or_b32_e32 v16, v15, v9
	v_or_b32_e32 v22, v20, v9
	s_and_b32 s1, s0, s1
	v_or_b32_e32 v25, v7, v8
	s_and_b32 s1, s1, s4
	v_cmp_lt_i32_e64 s2, -1, v16
	s_and_b32 s48, s1, s5
	v_cmp_gt_i32_e64 s1, s15, v61
	v_or_b32_e32 v16, v17, v9
	v_or_b32_e32 v24, v23, v9
	;; [unrolled: 1-line block ×3, first 2 shown]
	v_add_nc_u32_e32 v27, -1, v9
	s_and_b32 s2, s1, s2
	v_cmp_lt_i32_e64 s3, -1, v16
	s_and_b32 s2, s2, s4
	s_and_b32 s65, vcc_lo, s4
	s_and_b32 s49, s2, s5
	v_cmp_gt_i32_e64 s2, s14, v47
	s_and_b32 s3, vcc_lo, s3
	v_or_b32_e32 v26, v12, v27
	v_or_b32_e32 v29, v13, v27
	;; [unrolled: 1-line block ×3, first 2 shown]
	s_and_b32 s6, s3, s2
	v_cmp_lt_i32_e64 s3, -1, v18
	s_and_b32 s50, s6, s5
	v_cmp_lt_i32_e64 s6, -1, v24
	v_or_b32_e32 v24, v25, v9
	v_or_b32_e32 v9, v28, v9
	s_and_b32 s3, s0, s3
	v_or_b32_e32 v31, v17, v27
	s_and_b32 s3, s3, s2
	s_and_b32 s53, vcc_lo, s6
	s_and_b32 s51, s3, s5
	v_cmp_lt_i32_e64 s3, -1, v22
	v_cmp_lt_i32_e64 s6, -1, v24
	s_and_b32 s66, s0, s4
	v_or_b32_e32 v33, v19, v27
	s_and_b32 s67, s1, s4
	s_and_b32 s3, s1, s3
	;; [unrolled: 1-line block ×4, first 2 shown]
	v_cmp_lt_i32_e64 s4, -1, v31
	s_and_b32 s52, s3, s5
	v_cmp_gt_i32_e64 s3, s14, v8
	v_or_b32_e32 v35, v20, v27
	v_or_b32_e32 v37, v23, v27
	s_and_b32 s4, vcc_lo, s4
	v_or_b32_e32 v39, v25, v27
	s_and_b32 s6, s6, s3
	s_and_b32 s53, s53, s3
	;; [unrolled: 1-line block ×3, first 2 shown]
	v_cmp_lt_i32_e64 s6, -1, v9
	s_and_b32 s53, s53, s5
	s_and_b32 s4, s4, s2
	v_or_b32_e32 v42, v28, v27
	v_or_b32_e32 v49, v15, v45
	s_and_b32 s6, s1, s6
	v_add_nc_u32_e32 v15, v47, v11
	s_and_b32 s55, s6, s3
	v_cmp_lt_i32_e64 s6, -1, v26
	s_and_b32 s55, s55, s5
	v_cmp_gt_i32_e64 s5, s13, v27
	v_add_nc_u32_e32 v22, v8, v11
	v_subrev_nc_u32_e32 v11, s14, v11
	s_and_b32 s56, s65, s6
	v_cmp_lt_i32_e64 s6, -1, v29
	s_and_b32 s59, s4, s5
	v_cmp_lt_i32_e64 s4, -1, v35
	v_or_b32_e32 v46, v12, v45
	v_mul_lo_u32 v32, v22, s15
	s_and_b32 s57, s66, s6
	v_cmp_lt_i32_e64 s6, -1, v30
	v_add_nc_u32_e32 v9, v10, v11
	v_or_b32_e32 v48, v13, v45
	s_and_b32 s56, s56, s5
	s_and_b32 s57, s57, s5
	;; [unrolled: 1-line block ×3, first 2 shown]
	v_mul_lo_u32 v9, v9, s15
	s_and_b32 s58, s6, s5
	v_cmp_lt_i32_e64 s6, -1, v33
	v_add_nc_u32_e32 v22, v6, v32
	v_add_nc_u32_e32 v24, v7, v32
	;; [unrolled: 1-line block ×4, first 2 shown]
	s_and_b32 s6, s0, s6
	v_or_b32_e32 v50, v17, v45
	s_and_b32 s6, s6, s2
	v_or_b32_e32 v60, v28, v45
	s_and_b32 s60, s6, s5
	s_and_b32 s6, s1, s4
	v_cmp_lt_i32_e64 s4, -1, v37
	s_and_b32 s6, s6, s2
	v_add_nc_u32_e32 v28, v6, v9
	s_and_b32 s61, s6, s5
	v_add_nc_u32_e32 v30, v7, v9
	s_and_b32 s4, vcc_lo, s4
	v_mul_lo_u32 v38, v32, s15
	s_and_b32 s6, s4, s3
	v_cmp_lt_i32_e64 s4, -1, v39
	s_and_b32 s62, s6, s5
	v_add_nc_u32_e32 v32, v61, v9
	v_add_nc_u32_e32 v9, v8, v11
	v_or_b32_e32 v51, v19, v45
	s_and_b32 s6, s0, s4
	v_cmp_lt_i32_e64 s4, -1, v42
	s_and_b32 s6, s6, s3
	v_mul_lo_u32 v9, v9, s15
	s_and_b32 s63, s6, s5
	v_or_b32_e32 v53, v20, v45
	s_and_b32 s4, s1, s4
	v_subrev_nc_u32_e32 v11, s14, v11
	s_and_b32 s6, s4, s3
	v_cmp_lt_i32_e64 s4, -1, v46
	s_and_b32 s64, s6, s5
	v_cmp_gt_i32_e64 s5, s13, v45
	v_cmp_lt_i32_e64 s6, -1, v48
	v_or_b32_e32 v55, v23, v45
	s_and_b32 s4, s65, s4
	v_add_nc_u32_e32 v40, v6, v9
	s_and_b32 s65, s4, s5
	v_cmp_lt_i32_e64 s4, -1, v49
	s_and_b32 s6, s66, s6
	v_add_nc_u32_e32 v42, v7, v9
	s_and_b32 s66, s6, s5
	v_add_nc_u32_e32 v44, v61, v9
	s_and_b32 s6, s67, s4
	v_cmp_lt_i32_e64 s4, -1, v50
	s_and_b32 s67, s6, s5
	v_cmp_lt_i32_e64 s6, -1, v51
	v_add_nc_u32_e32 v9, v47, v11
	v_add_nc_u32_e32 v8, v8, v11
	s_and_b32 s4, vcc_lo, s4
	v_add_nc_u32_e32 v4, v6, v14
	s_and_b32 s4, s4, s2
	s_and_b32 s68, s0, s6
	;; [unrolled: 1-line block ×3, first 2 shown]
	v_cmp_lt_i32_e64 s4, -1, v53
	v_mul_lo_u32 v9, v9, s15
	v_mul_lo_u32 v8, v8, s15
	s_and_b32 s68, s68, s2
	v_mul_lo_u32 v21, v15, s15
	s_and_b32 s69, s1, s4
	v_cmp_lt_i32_e64 s4, -1, v55
	s_and_b32 s2, s69, s2
	v_ashrrev_i32_e32 v5, 31, v4
	s_and_b32 s69, s2, s5
	v_add_nc_u32_e32 v52, v6, v9
	s_and_b32 s2, vcc_lo, s4
	v_add_nc_u32_e32 v54, v7, v9
	s_and_b32 s2, s2, s3
	v_add_nc_u32_e32 v56, v61, v9
	v_add_nc_u32_e32 v58, v6, v8
	s_and_b32 s4, s2, s5
	v_cmp_lt_i32_e64 s2, -1, v60
	v_add_nc_u32_e32 v60, v7, v8
	v_add_nc_u32_e32 v62, v61, v8
	v_mov_b32_e32 v8, 0
	v_dual_mov_b32 v9, 0 :: v_dual_add_nc_u32 v10, v10, v11
	v_add_nc_u32_e32 v12, v7, v14
	v_add_nc_u32_e32 v14, v61, v14
	;; [unrolled: 1-line block ×4, first 2 shown]
	v_mul_lo_u32 v10, v10, s15
	v_or_b32_e32 v59, v25, v45
	v_add_nc_u32_e32 v36, v7, v38
	v_ashrrev_i32_e32 v13, 31, v12
	v_ashrrev_i32_e32 v15, 31, v14
	;; [unrolled: 1-line block ×5, first 2 shown]
	v_add_nc_u32_e32 v46, v6, v10
	v_add_nc_u32_e32 v48, v7, v10
	;; [unrolled: 1-line block ×3, first 2 shown]
	v_lshlrev_b64 v[10:11], 3, v[4:5]
	v_dual_mov_b32 v4, v8 :: v_dual_mov_b32 v5, v9
	v_add_nc_u32_e32 v16, v6, v21
	v_add_nc_u32_e32 v34, v6, v38
	;; [unrolled: 1-line block ×3, first 2 shown]
	v_ashrrev_i32_e32 v21, 31, v20
	v_ashrrev_i32_e32 v27, 31, v26
	;; [unrolled: 1-line block ×18, first 2 shown]
	v_cmp_lt_i32_e32 vcc_lo, -1, v59
	v_ashrrev_i32_e32 v59, 31, v58
	v_ashrrev_i32_e32 v61, 31, v60
	;; [unrolled: 1-line block ×3, first 2 shown]
	v_mul_lo_u32 v6, s45, v178
	s_and_b32 s0, s0, vcc_lo
	s_and_b32 s1, s1, s2
	v_lshlrev_b64 v[12:13], 3, v[12:13]
	v_lshlrev_b64 v[14:15], 3, v[14:15]
	;; [unrolled: 1-line block ×26, first 2 shown]
	s_and_b32 s0, s0, s3
	s_and_b32 s1, s1, s3
	;; [unrolled: 1-line block ×5, first 2 shown]
	s_mov_b32 s2, s42
	s_branch .LBB12_6
.LBB12_5:                               ;   in Loop: Header=BB12_6 Depth=2
	s_or_b32 exec_lo, exec_lo, s3
	s_waitcnt vmcnt(26)
	v_fma_f64 v[4:5], v[64:65], v[66:67], v[4:5]
	v_add_co_u32 v0, vcc_lo, 0xd8, v0
	v_add_co_ci_u32_e32 v1, vcc_lo, 0, v1, vcc_lo
	v_add_nc_u32_e32 v6, s31, v6
	s_add_i32 s2, s2, -1
	s_delay_alu instid0(SALU_CYCLE_1) | instskip(SKIP_1) | instid1(VALU_DEP_4)
	s_cmp_eq_u32 s2, 0
	s_waitcnt vmcnt(25)
	v_fma_f64 v[4:5], v[68:69], v[72:73], v[4:5]
	s_waitcnt vmcnt(24)
	s_delay_alu instid0(VALU_DEP_1) | instskip(SKIP_1) | instid1(VALU_DEP_1)
	v_fma_f64 v[4:5], v[74:75], v[70:71], v[4:5]
	s_waitcnt vmcnt(23)
	v_fma_f64 v[4:5], v[76:77], v[80:81], v[4:5]
	s_waitcnt vmcnt(22)
	s_delay_alu instid0(VALU_DEP_1) | instskip(SKIP_1) | instid1(VALU_DEP_1)
	v_fma_f64 v[4:5], v[82:83], v[78:79], v[4:5]
	;; [unrolled: 5-line block ×12, first 2 shown]
	s_waitcnt vmcnt(1)
	v_fma_f64 v[4:5], v[164:165], v[168:169], v[4:5]
	s_waitcnt vmcnt(0)
	s_delay_alu instid0(VALU_DEP_1)
	v_fma_f64 v[4:5], v[170:171], v[166:167], v[4:5]
	s_cbranch_scc1 .LBB12_2
.LBB12_6:                               ;   Parent Loop BB12_3 Depth=1
                                        ; =>  This Inner Loop Header: Depth=2
	global_load_b64 v[64:65], v[0:1], off
	v_ashrrev_i32_e32 v7, 31, v6
	s_delay_alu instid0(VALU_DEP_1) | instskip(NEXT) | instid1(VALU_DEP_1)
	v_lshlrev_b64 v[66:67], 3, v[6:7]
	v_add_co_u32 v7, vcc_lo, v181, v66
	s_delay_alu instid0(VALU_DEP_2)
	v_add_co_ci_u32_e32 v183, vcc_lo, v182, v67, vcc_lo
	v_dual_mov_b32 v67, v9 :: v_dual_mov_b32 v66, v8
	s_and_saveexec_b32 s3, s47
	s_cbranch_execz .LBB12_8
; %bb.7:                                ;   in Loop: Header=BB12_6 Depth=2
	v_add_co_u32 v66, vcc_lo, v7, v10
	v_add_co_ci_u32_e32 v67, vcc_lo, v183, v11, vcc_lo
	global_load_b64 v[66:67], v[66:67], off
.LBB12_8:                               ;   in Loop: Header=BB12_6 Depth=2
	s_or_b32 exec_lo, exec_lo, s3
	global_load_b64 v[68:69], v[0:1], off offset:8
	v_mov_b32_e32 v70, 0
	v_mov_b32_e32 v71, 0
	s_delay_alu instid0(VALU_DEP_1)
	v_dual_mov_b32 v73, v71 :: v_dual_mov_b32 v72, v70
	s_and_saveexec_b32 s3, s48
	s_cbranch_execz .LBB12_10
; %bb.9:                                ;   in Loop: Header=BB12_6 Depth=2
	v_add_co_u32 v72, vcc_lo, v7, v12
	v_add_co_ci_u32_e32 v73, vcc_lo, v183, v13, vcc_lo
	global_load_b64 v[72:73], v[72:73], off
.LBB12_10:                              ;   in Loop: Header=BB12_6 Depth=2
	s_or_b32 exec_lo, exec_lo, s3
	global_load_b64 v[74:75], v[0:1], off offset:16
	s_and_saveexec_b32 s3, s49
	s_cbranch_execz .LBB12_12
; %bb.11:                               ;   in Loop: Header=BB12_6 Depth=2
	v_add_co_u32 v70, vcc_lo, v7, v14
	v_add_co_ci_u32_e32 v71, vcc_lo, v183, v15, vcc_lo
	global_load_b64 v[70:71], v[70:71], off
.LBB12_12:                              ;   in Loop: Header=BB12_6 Depth=2
	s_or_b32 exec_lo, exec_lo, s3
	global_load_b64 v[76:77], v[0:1], off offset:24
	v_mov_b32_e32 v78, 0
	v_mov_b32_e32 v79, 0
	s_delay_alu instid0(VALU_DEP_1)
	v_dual_mov_b32 v81, v79 :: v_dual_mov_b32 v80, v78
	s_and_saveexec_b32 s3, s50
	s_cbranch_execz .LBB12_14
; %bb.13:                               ;   in Loop: Header=BB12_6 Depth=2
	v_add_co_u32 v80, vcc_lo, v7, v16
	v_add_co_ci_u32_e32 v81, vcc_lo, v183, v17, vcc_lo
	global_load_b64 v[80:81], v[80:81], off
.LBB12_14:                              ;   in Loop: Header=BB12_6 Depth=2
	s_or_b32 exec_lo, exec_lo, s3
	global_load_b64 v[82:83], v[0:1], off offset:32
	s_and_saveexec_b32 s3, s51
	s_cbranch_execz .LBB12_16
; %bb.15:                               ;   in Loop: Header=BB12_6 Depth=2
	v_add_co_u32 v78, vcc_lo, v7, v18
	v_add_co_ci_u32_e32 v79, vcc_lo, v183, v19, vcc_lo
	global_load_b64 v[78:79], v[78:79], off
.LBB12_16:                              ;   in Loop: Header=BB12_6 Depth=2
	s_or_b32 exec_lo, exec_lo, s3
	global_load_b64 v[84:85], v[0:1], off offset:40
	v_mov_b32_e32 v86, 0
	v_mov_b32_e32 v87, 0
	s_delay_alu instid0(VALU_DEP_1)
	v_dual_mov_b32 v89, v87 :: v_dual_mov_b32 v88, v86
	s_and_saveexec_b32 s3, s52
	s_cbranch_execz .LBB12_18
; %bb.17:                               ;   in Loop: Header=BB12_6 Depth=2
	v_add_co_u32 v88, vcc_lo, v7, v20
	v_add_co_ci_u32_e32 v89, vcc_lo, v183, v21, vcc_lo
	global_load_b64 v[88:89], v[88:89], off
.LBB12_18:                              ;   in Loop: Header=BB12_6 Depth=2
	;; [unrolled: 22-line block ×12, first 2 shown]
	s_or_b32 exec_lo, exec_lo, s3
	global_load_b64 v[170:171], v[0:1], off offset:208
	s_and_saveexec_b32 s3, s1
	s_cbranch_execz .LBB12_5
; %bb.59:                               ;   in Loop: Header=BB12_6 Depth=2
	v_add_co_u32 v166, vcc_lo, v7, v62
	v_add_co_ci_u32_e32 v167, vcc_lo, v183, v63, vcc_lo
	global_load_b64 v[166:167], v[166:167], off
	s_branch .LBB12_5
.LBB12_60:
	s_nop 0
	s_sendmsg sendmsg(MSG_DEALLOC_VGPRS)
	s_endpgm
	.section	.rodata,"a",@progbits
	.p2align	6, 0x0
	.amdhsa_kernel _ZN2at6native12_GLOBAL__N_143conv_depthwise3d_cuda_backward_input_kernelIddLi3ELi3ELi3ELi1ELi1ELi1ELi1ELi1ELi1EEEvN5torch10headeronly6detail27GenericPackedTensorAccessorINS5_14TensorAccessorIN3c108ArrayRefIlEEKT_Lm4ENS4_16DefaultPtrTraitsEiEENS_6detail16IndexBoundsCheckILm5EiEESC_Lm5ESD_iEENS6_INS7_ISA_SB_Lm4ESD_iEESH_SB_Lm5ESD_iEESI_iiiiiiiii
		.amdhsa_group_segment_fixed_size 0
		.amdhsa_private_segment_fixed_size 0
		.amdhsa_kernarg_size 440
		.amdhsa_user_sgpr_count 15
		.amdhsa_user_sgpr_dispatch_ptr 0
		.amdhsa_user_sgpr_queue_ptr 0
		.amdhsa_user_sgpr_kernarg_segment_ptr 1
		.amdhsa_user_sgpr_dispatch_id 0
		.amdhsa_user_sgpr_private_segment_size 0
		.amdhsa_wavefront_size32 1
		.amdhsa_uses_dynamic_stack 0
		.amdhsa_enable_private_segment 0
		.amdhsa_system_sgpr_workgroup_id_x 1
		.amdhsa_system_sgpr_workgroup_id_y 0
		.amdhsa_system_sgpr_workgroup_id_z 0
		.amdhsa_system_sgpr_workgroup_info 0
		.amdhsa_system_vgpr_workitem_id 0
		.amdhsa_next_free_vgpr 184
		.amdhsa_next_free_sgpr 70
		.amdhsa_reserve_vcc 1
		.amdhsa_float_round_mode_32 0
		.amdhsa_float_round_mode_16_64 0
		.amdhsa_float_denorm_mode_32 3
		.amdhsa_float_denorm_mode_16_64 3
		.amdhsa_dx10_clamp 1
		.amdhsa_ieee_mode 1
		.amdhsa_fp16_overflow 0
		.amdhsa_workgroup_processor_mode 1
		.amdhsa_memory_ordered 1
		.amdhsa_forward_progress 0
		.amdhsa_shared_vgpr_count 0
		.amdhsa_exception_fp_ieee_invalid_op 0
		.amdhsa_exception_fp_denorm_src 0
		.amdhsa_exception_fp_ieee_div_zero 0
		.amdhsa_exception_fp_ieee_overflow 0
		.amdhsa_exception_fp_ieee_underflow 0
		.amdhsa_exception_fp_ieee_inexact 0
		.amdhsa_exception_int_div_zero 0
	.end_amdhsa_kernel
	.section	.text._ZN2at6native12_GLOBAL__N_143conv_depthwise3d_cuda_backward_input_kernelIddLi3ELi3ELi3ELi1ELi1ELi1ELi1ELi1ELi1EEEvN5torch10headeronly6detail27GenericPackedTensorAccessorINS5_14TensorAccessorIN3c108ArrayRefIlEEKT_Lm4ENS4_16DefaultPtrTraitsEiEENS_6detail16IndexBoundsCheckILm5EiEESC_Lm5ESD_iEENS6_INS7_ISA_SB_Lm4ESD_iEESH_SB_Lm5ESD_iEESI_iiiiiiiii,"axG",@progbits,_ZN2at6native12_GLOBAL__N_143conv_depthwise3d_cuda_backward_input_kernelIddLi3ELi3ELi3ELi1ELi1ELi1ELi1ELi1ELi1EEEvN5torch10headeronly6detail27GenericPackedTensorAccessorINS5_14TensorAccessorIN3c108ArrayRefIlEEKT_Lm4ENS4_16DefaultPtrTraitsEiEENS_6detail16IndexBoundsCheckILm5EiEESC_Lm5ESD_iEENS6_INS7_ISA_SB_Lm4ESD_iEESH_SB_Lm5ESD_iEESI_iiiiiiiii,comdat
.Lfunc_end12:
	.size	_ZN2at6native12_GLOBAL__N_143conv_depthwise3d_cuda_backward_input_kernelIddLi3ELi3ELi3ELi1ELi1ELi1ELi1ELi1ELi1EEEvN5torch10headeronly6detail27GenericPackedTensorAccessorINS5_14TensorAccessorIN3c108ArrayRefIlEEKT_Lm4ENS4_16DefaultPtrTraitsEiEENS_6detail16IndexBoundsCheckILm5EiEESC_Lm5ESD_iEENS6_INS7_ISA_SB_Lm4ESD_iEESH_SB_Lm5ESD_iEESI_iiiiiiiii, .Lfunc_end12-_ZN2at6native12_GLOBAL__N_143conv_depthwise3d_cuda_backward_input_kernelIddLi3ELi3ELi3ELi1ELi1ELi1ELi1ELi1ELi1EEEvN5torch10headeronly6detail27GenericPackedTensorAccessorINS5_14TensorAccessorIN3c108ArrayRefIlEEKT_Lm4ENS4_16DefaultPtrTraitsEiEENS_6detail16IndexBoundsCheckILm5EiEESC_Lm5ESD_iEENS6_INS7_ISA_SB_Lm4ESD_iEESH_SB_Lm5ESD_iEESI_iiiiiiiii
                                        ; -- End function
	.section	.AMDGPU.csdata,"",@progbits
; Kernel info:
; codeLenInByte = 4520
; NumSgprs: 72
; NumVgprs: 184
; ScratchSize: 0
; MemoryBound: 0
; FloatMode: 240
; IeeeMode: 1
; LDSByteSize: 0 bytes/workgroup (compile time only)
; SGPRBlocks: 8
; VGPRBlocks: 22
; NumSGPRsForWavesPerEU: 72
; NumVGPRsForWavesPerEU: 184
; Occupancy: 8
; WaveLimiterHint : 0
; COMPUTE_PGM_RSRC2:SCRATCH_EN: 0
; COMPUTE_PGM_RSRC2:USER_SGPR: 15
; COMPUTE_PGM_RSRC2:TRAP_HANDLER: 0
; COMPUTE_PGM_RSRC2:TGID_X_EN: 1
; COMPUTE_PGM_RSRC2:TGID_Y_EN: 0
; COMPUTE_PGM_RSRC2:TGID_Z_EN: 0
; COMPUTE_PGM_RSRC2:TIDIG_COMP_CNT: 0
	.section	.text._ZN2at6native12_GLOBAL__N_143conv_depthwise3d_cuda_backward_input_kernelIddLi3ELi3ELi3ELi1ELi1ELi1ELin1ELin1ELin1EEEvN5torch10headeronly6detail27GenericPackedTensorAccessorINS5_14TensorAccessorIN3c108ArrayRefIlEEKT_Lm4ENS4_16DefaultPtrTraitsEiEENS_6detail16IndexBoundsCheckILm5EiEESC_Lm5ESD_iEENS6_INS7_ISA_SB_Lm4ESD_iEESH_SB_Lm5ESD_iEESI_iiiiiiiii,"axG",@progbits,_ZN2at6native12_GLOBAL__N_143conv_depthwise3d_cuda_backward_input_kernelIddLi3ELi3ELi3ELi1ELi1ELi1ELin1ELin1ELin1EEEvN5torch10headeronly6detail27GenericPackedTensorAccessorINS5_14TensorAccessorIN3c108ArrayRefIlEEKT_Lm4ENS4_16DefaultPtrTraitsEiEENS_6detail16IndexBoundsCheckILm5EiEESC_Lm5ESD_iEENS6_INS7_ISA_SB_Lm4ESD_iEESH_SB_Lm5ESD_iEESI_iiiiiiiii,comdat
	.globl	_ZN2at6native12_GLOBAL__N_143conv_depthwise3d_cuda_backward_input_kernelIddLi3ELi3ELi3ELi1ELi1ELi1ELin1ELin1ELin1EEEvN5torch10headeronly6detail27GenericPackedTensorAccessorINS5_14TensorAccessorIN3c108ArrayRefIlEEKT_Lm4ENS4_16DefaultPtrTraitsEiEENS_6detail16IndexBoundsCheckILm5EiEESC_Lm5ESD_iEENS6_INS7_ISA_SB_Lm4ESD_iEESH_SB_Lm5ESD_iEESI_iiiiiiiii ; -- Begin function _ZN2at6native12_GLOBAL__N_143conv_depthwise3d_cuda_backward_input_kernelIddLi3ELi3ELi3ELi1ELi1ELi1ELin1ELin1ELin1EEEvN5torch10headeronly6detail27GenericPackedTensorAccessorINS5_14TensorAccessorIN3c108ArrayRefIlEEKT_Lm4ENS4_16DefaultPtrTraitsEiEENS_6detail16IndexBoundsCheckILm5EiEESC_Lm5ESD_iEENS6_INS7_ISA_SB_Lm4ESD_iEESH_SB_Lm5ESD_iEESI_iiiiiiiii
	.p2align	8
	.type	_ZN2at6native12_GLOBAL__N_143conv_depthwise3d_cuda_backward_input_kernelIddLi3ELi3ELi3ELi1ELi1ELi1ELin1ELin1ELin1EEEvN5torch10headeronly6detail27GenericPackedTensorAccessorINS5_14TensorAccessorIN3c108ArrayRefIlEEKT_Lm4ENS4_16DefaultPtrTraitsEiEENS_6detail16IndexBoundsCheckILm5EiEESC_Lm5ESD_iEENS6_INS7_ISA_SB_Lm4ESD_iEESH_SB_Lm5ESD_iEESI_iiiiiiiii,@function
_ZN2at6native12_GLOBAL__N_143conv_depthwise3d_cuda_backward_input_kernelIddLi3ELi3ELi3ELi1ELi1ELi1ELin1ELin1ELin1EEEvN5torch10headeronly6detail27GenericPackedTensorAccessorINS5_14TensorAccessorIN3c108ArrayRefIlEEKT_Lm4ENS4_16DefaultPtrTraitsEiEENS_6detail16IndexBoundsCheckILm5EiEESC_Lm5ESD_iEENS6_INS7_ISA_SB_Lm4ESD_iEESH_SB_Lm5ESD_iEESI_iiiiiiiii: ; @_ZN2at6native12_GLOBAL__N_143conv_depthwise3d_cuda_backward_input_kernelIddLi3ELi3ELi3ELi1ELi1ELi1ELin1ELin1ELin1EEEvN5torch10headeronly6detail27GenericPackedTensorAccessorINS5_14TensorAccessorIN3c108ArrayRefIlEEKT_Lm4ENS4_16DefaultPtrTraitsEiEENS_6detail16IndexBoundsCheckILm5EiEESC_Lm5ESD_iEENS6_INS7_ISA_SB_Lm4ESD_iEESH_SB_Lm5ESD_iEESI_iiiiiiiii
; %bb.0:
	s_clause 0x2
	s_load_b128 s[44:47], s[0:1], 0x38
	s_load_b32 s4, s[0:1], 0xc4
	s_load_b64 s[60:61], s[0:1], 0x48
	s_mov_b32 s6, exec_lo
	s_waitcnt lgkmcnt(0)
	s_abs_i32 s74, s45
	s_add_u32 s2, s0, 0xb8
	v_cvt_f32_u32_e32 v1, s74
	s_addc_u32 s3, s1, 0
	s_and_b32 s4, s4, 0xffff
	s_mul_i32 s62, s61, s44
	s_delay_alu instid0(SALU_CYCLE_1) | instskip(SKIP_3) | instid1(VALU_DEP_1)
	s_ashr_i32 s63, s62, 31
	v_rcp_iflag_f32_e32 v2, v1
	s_waitcnt_depctr 0xfff
	v_dual_mov_b32 v1, 0 :: v_dual_mul_f32 v4, 0x4f7ffffe, v2
	v_mad_u64_u32 v[2:3], null, s4, s15, v[0:1]
	s_delay_alu instid0(VALU_DEP_2) | instskip(NEXT) | instid1(VALU_DEP_1)
	v_cvt_u32_f32_e32 v0, v4
	v_readfirstlane_b32 s5, v0
	s_delay_alu instid0(VALU_DEP_3)
	v_cmpx_gt_i64_e64 s[62:63], v[2:3]
	s_cbranch_execz .LBB13_60
; %bb.1:
	s_load_b64 s[8:9], s[0:1], 0xa0
	s_load_b32 s2, s[2:3], 0x0
	s_clause 0x2
	s_load_b128 s[52:55], s[0:1], 0x90
	s_load_b32 s3, s[0:1], 0x7c
	s_load_b128 s[48:51], s[0:1], 0xc
                                        ; implicit-def: $vgpr187 : SGPR spill to VGPR lane
	s_sub_i32 s6, 0, s74
	s_clause 0x3
	s_load_b64 s[68:69], s[0:1], 0x1c
	s_load_b64 s[70:71], s[0:1], 0x30
	;; [unrolled: 1-line block ×3, first 2 shown]
	s_load_b128 s[56:59], s[0:1], 0x50
	s_ashr_i32 s75, s45, 31
	v_mul_lo_u32 v1, s6, v0
	s_mov_b32 s76, 0
	s_delay_alu instid0(VALU_DEP_1) | instskip(SKIP_2) | instid1(VALU_DEP_2)
	v_mul_hi_u32 v1, v0, v1
	s_waitcnt lgkmcnt(0)
	v_writelane_b32 v187, s8, 0
	v_add_nc_u32_e32 v175, v0, v1
	v_writelane_b32 v187, s9, 1
	s_load_b64 s[8:9], s[0:1], 0x0
	s_ashr_i32 s1, s48, 31
	s_delay_alu instid0(SALU_CYCLE_1) | instskip(SKIP_2) | instid1(SALU_CYCLE_1)
	s_xor_b32 s1, s1, s75
	v_writelane_b32 v187, s3, 2
	s_mul_i32 s3, s6, s5
	s_mul_hi_u32 s3, s5, s3
	s_delay_alu instid0(SALU_CYCLE_1) | instskip(SKIP_3) | instid1(SALU_CYCLE_1)
	s_add_i32 s5, s5, s3
	s_abs_i32 s3, s48
	s_mul_i32 s48, s2, s4
	s_mul_hi_u32 s0, s3, s5
	s_mul_i32 s5, s0, s74
	s_delay_alu instid0(SALU_CYCLE_1)
	s_sub_i32 s3, s3, s5
	s_add_i32 s5, s0, 1
	s_sub_i32 s7, s3, s74
	s_cmp_ge_u32 s3, s74
	s_waitcnt lgkmcnt(0)
	v_writelane_b32 v187, s8, 3
	s_cselect_b32 s0, s5, s0
	s_cselect_b32 s3, s7, s3
	s_add_i32 s5, s0, 1
	s_cmp_ge_u32 s3, s74
	v_writelane_b32 v187, s9, 4
	s_cselect_b32 s0, s5, s0
	s_abs_i32 s79, s60
	s_abs_i32 s80, s47
	v_cvt_f32_u32_e32 v4, s79
	v_cvt_f32_u32_e32 v5, s80
	s_abs_i32 s81, s46
	s_abs_i32 s82, s52
	;; [unrolled: 1-line block ×3, first 2 shown]
	v_rcp_iflag_f32_e32 v4, v4
	s_abs_i32 s84, s54
	v_cvt_f32_u32_e32 v6, s81
	v_cvt_f32_u32_e32 v7, s82
	;; [unrolled: 1-line block ×4, first 2 shown]
	v_rcp_iflag_f32_e32 v5, v5
	v_rcp_iflag_f32_e32 v6, v6
	;; [unrolled: 1-line block ×5, first 2 shown]
	v_mul_f32_e32 v4, 0x4f7ffffe, v4
	s_sub_i32 s2, 0, s79
	s_sub_i32 s3, 0, s80
	;; [unrolled: 1-line block ×4, first 2 shown]
	v_mul_f32_e32 v5, 0x4f7ffffe, v5
	v_cvt_u32_f32_e32 v4, v4
	v_dual_mul_f32 v6, 0x4f7ffffe, v6 :: v_dual_mul_f32 v7, 0x4f7ffffe, v7
	s_waitcnt_depctr 0xfff
	v_dual_mul_f32 v8, 0x4f7ffffe, v8 :: v_dual_mul_f32 v9, 0x4f7ffffe, v9
	v_mul_lo_u32 v10, s2, v4
	v_cvt_u32_f32_e32 v5, v5
	v_cvt_u32_f32_e32 v6, v6
	;; [unrolled: 1-line block ×5, first 2 shown]
	s_sub_i32 s6, 0, s83
	s_sub_i32 s2, 0, s84
	v_mul_lo_u32 v11, s3, v5
	v_mul_hi_u32 v10, v4, v10
	v_mul_lo_u32 v12, s4, v6
	v_mul_lo_u32 v13, s5, v7
	;; [unrolled: 1-line block ×4, first 2 shown]
	s_xor_b32 s0, s0, s1
	s_ashr_i32 s78, s60, 31
	v_mul_hi_u32 v11, v5, v11
	v_add_nc_u32_e32 v172, v4, v10
	v_mul_hi_u32 v4, v6, v12
	v_mul_hi_u32 v10, v7, v13
	;; [unrolled: 1-line block ×4, first 2 shown]
	s_sub_i32 s85, s0, s1
	s_ashr_i32 s86, s47, 31
	v_add_nc_u32_e32 v173, v5, v11
	s_ashr_i32 s87, s46, 31
	v_add_nc_u32_e32 v174, v6, v4
	v_add_nc_u32_e32 v176, v7, v10
	;; [unrolled: 1-line block ×4, first 2 shown]
	s_ashr_i32 s88, s52, 31
	s_ashr_i32 s89, s53, 31
	;; [unrolled: 1-line block ×3, first 2 shown]
	s_branch .LBB13_3
.LBB13_2:                               ;   in Loop: Header=BB13_3 Depth=1
	s_or_b32 exec_lo, exec_lo, s92
	v_mul_lo_u32 v0, v183, s61
	v_mul_lo_u32 v4, s56, v181
	;; [unrolled: 1-line block ×4, first 2 shown]
	v_add_co_u32 v2, vcc_lo, v2, s48
	v_add_co_ci_u32_e32 v3, vcc_lo, 0, v3, vcc_lo
	v_ashrrev_i32_e32 v1, 31, v0
	v_ashrrev_i32_e32 v5, 31, v4
	;; [unrolled: 1-line block ×3, first 2 shown]
	v_mul_lo_u32 v10, s59, v179
	v_ashrrev_i32_e32 v9, 31, v8
	v_lshlrev_b64 v[0:1], 3, v[0:1]
	v_lshlrev_b64 v[4:5], 3, v[4:5]
	s_delay_alu instid0(VALU_DEP_4) | instskip(NEXT) | instid1(VALU_DEP_3)
	v_ashrrev_i32_e32 v11, 31, v10
	v_add_co_u32 v12, vcc_lo, s70, v0
	s_delay_alu instid0(VALU_DEP_4) | instskip(SKIP_1) | instid1(VALU_DEP_3)
	v_add_co_ci_u32_e32 v13, vcc_lo, s71, v1, vcc_lo
	v_lshlrev_b64 v[0:1], 3, v[6:7]
	v_add_co_u32 v6, vcc_lo, v12, v4
	s_delay_alu instid0(VALU_DEP_3) | instskip(SKIP_1) | instid1(VALU_DEP_3)
	v_add_co_ci_u32_e32 v7, vcc_lo, v13, v5, vcc_lo
	v_lshlrev_b64 v[4:5], 3, v[8:9]
	v_add_co_u32 v6, vcc_lo, v6, v0
	s_delay_alu instid0(VALU_DEP_3) | instskip(SKIP_1) | instid1(VALU_DEP_3)
	;; [unrolled: 4-line block ×3, first 2 shown]
	v_add_co_ci_u32_e32 v5, vcc_lo, v7, v5, vcc_lo
	v_cmp_le_i64_e32 vcc_lo, s[62:63], v[2:3]
	v_add_co_u32 v0, s0, v4, v0
	s_delay_alu instid0(VALU_DEP_1)
	v_add_co_ci_u32_e64 v1, s0, v5, v1, s0
	s_or_b32 s76, vcc_lo, s76
	global_store_b64 v[0:1], v[62:63], off
	s_and_not1_b32 exec_lo, exec_lo, s76
	s_cbranch_execz .LBB13_60
.LBB13_3:                               ; =>This Loop Header: Depth=1
                                        ;     Child Loop BB13_6 Depth 2
	v_sub_nc_u32_e32 v0, 0, v2
	v_mov_b32_e32 v62, 0
	s_mov_b32 s92, exec_lo
	v_mov_b32_e32 v63, 0
	s_delay_alu instid0(VALU_DEP_3) | instskip(NEXT) | instid1(VALU_DEP_1)
	v_max_i32_e32 v0, v2, v0
	v_mul_hi_u32 v1, v0, v172
	s_delay_alu instid0(VALU_DEP_1) | instskip(NEXT) | instid1(VALU_DEP_1)
	v_mul_lo_u32 v4, v1, s79
	v_sub_nc_u32_e32 v0, v0, v4
	v_add_nc_u32_e32 v4, 1, v1
	s_delay_alu instid0(VALU_DEP_2) | instskip(SKIP_1) | instid1(VALU_DEP_2)
	v_subrev_nc_u32_e32 v5, s79, v0
	v_cmp_le_u32_e32 vcc_lo, s79, v0
	v_dual_cndmask_b32 v1, v1, v4 :: v_dual_cndmask_b32 v0, v0, v5
	v_ashrrev_i32_e32 v4, 31, v2
	s_delay_alu instid0(VALU_DEP_2) | instskip(NEXT) | instid1(VALU_DEP_3)
	v_add_nc_u32_e32 v5, 1, v1
	v_cmp_le_u32_e32 vcc_lo, s79, v0
	s_delay_alu instid0(VALU_DEP_3) | instskip(NEXT) | instid1(VALU_DEP_3)
	v_xor_b32_e32 v4, s78, v4
	v_cndmask_b32_e32 v0, v1, v5, vcc_lo
	s_delay_alu instid0(VALU_DEP_1) | instskip(NEXT) | instid1(VALU_DEP_1)
	v_xor_b32_e32 v0, v0, v4
	v_sub_nc_u32_e32 v1, v0, v4
	s_delay_alu instid0(VALU_DEP_1) | instskip(NEXT) | instid1(VALU_DEP_1)
	v_sub_nc_u32_e32 v0, 0, v1
	v_max_i32_e32 v0, v1, v0
	s_delay_alu instid0(VALU_DEP_1) | instskip(NEXT) | instid1(VALU_DEP_1)
	v_mul_hi_u32 v4, v0, v173
	v_mul_lo_u32 v5, v4, s80
	s_delay_alu instid0(VALU_DEP_1) | instskip(SKIP_1) | instid1(VALU_DEP_2)
	v_sub_nc_u32_e32 v0, v0, v5
	v_add_nc_u32_e32 v5, 1, v4
	v_subrev_nc_u32_e32 v6, s80, v0
	v_cmp_le_u32_e32 vcc_lo, s80, v0
	s_delay_alu instid0(VALU_DEP_3) | instskip(NEXT) | instid1(VALU_DEP_3)
	v_cndmask_b32_e32 v4, v4, v5, vcc_lo
	v_cndmask_b32_e32 v0, v0, v6, vcc_lo
	v_ashrrev_i32_e32 v5, 31, v1
	s_delay_alu instid0(VALU_DEP_3) | instskip(NEXT) | instid1(VALU_DEP_3)
	v_add_nc_u32_e32 v6, 1, v4
	v_cmp_le_u32_e32 vcc_lo, s80, v0
	s_delay_alu instid0(VALU_DEP_3) | instskip(NEXT) | instid1(VALU_DEP_3)
	v_xor_b32_e32 v5, s86, v5
	v_cndmask_b32_e32 v0, v4, v6, vcc_lo
	s_delay_alu instid0(VALU_DEP_1) | instskip(NEXT) | instid1(VALU_DEP_1)
	v_xor_b32_e32 v0, v0, v5
	v_sub_nc_u32_e32 v4, v0, v5
	s_delay_alu instid0(VALU_DEP_1) | instskip(NEXT) | instid1(VALU_DEP_1)
	v_sub_nc_u32_e32 v0, 0, v4
	v_max_i32_e32 v0, v4, v0
	s_delay_alu instid0(VALU_DEP_1) | instskip(NEXT) | instid1(VALU_DEP_1)
	v_mul_hi_u32 v5, v0, v174
	v_mul_lo_u32 v6, v5, s81
	s_delay_alu instid0(VALU_DEP_1) | instskip(SKIP_1) | instid1(VALU_DEP_2)
	v_sub_nc_u32_e32 v0, v0, v6
	v_add_nc_u32_e32 v6, 1, v5
	v_subrev_nc_u32_e32 v7, s81, v0
	v_cmp_le_u32_e32 vcc_lo, s81, v0
	s_delay_alu instid0(VALU_DEP_2) | instskip(SKIP_1) | instid1(VALU_DEP_2)
	v_dual_cndmask_b32 v5, v5, v6 :: v_dual_cndmask_b32 v0, v0, v7
	v_ashrrev_i32_e32 v6, 31, v4
	v_add_nc_u32_e32 v7, 1, v5
	s_delay_alu instid0(VALU_DEP_3) | instskip(NEXT) | instid1(VALU_DEP_3)
	v_cmp_le_u32_e32 vcc_lo, s81, v0
	v_xor_b32_e32 v6, s87, v6
	s_delay_alu instid0(VALU_DEP_3) | instskip(NEXT) | instid1(VALU_DEP_1)
	v_cndmask_b32_e32 v0, v5, v7, vcc_lo
	v_xor_b32_e32 v0, v0, v6
	s_delay_alu instid0(VALU_DEP_1) | instskip(NEXT) | instid1(VALU_DEP_1)
	v_sub_nc_u32_e32 v5, v0, v6
	v_sub_nc_u32_e32 v0, 0, v5
	s_delay_alu instid0(VALU_DEP_1) | instskip(NEXT) | instid1(VALU_DEP_1)
	v_max_i32_e32 v0, v5, v0
	v_mul_hi_u32 v6, v0, v175
	s_delay_alu instid0(VALU_DEP_1) | instskip(NEXT) | instid1(VALU_DEP_1)
	v_mul_lo_u32 v7, v6, s74
	v_sub_nc_u32_e32 v0, v0, v7
	v_add_nc_u32_e32 v7, 1, v6
	s_delay_alu instid0(VALU_DEP_2) | instskip(SKIP_1) | instid1(VALU_DEP_3)
	v_subrev_nc_u32_e32 v8, s74, v0
	v_cmp_le_u32_e32 vcc_lo, s74, v0
	v_cndmask_b32_e32 v6, v6, v7, vcc_lo
	s_delay_alu instid0(VALU_DEP_3) | instskip(SKIP_1) | instid1(VALU_DEP_3)
	v_cndmask_b32_e32 v0, v0, v8, vcc_lo
	v_ashrrev_i32_e32 v7, 31, v5
	v_add_nc_u32_e32 v8, 1, v6
	s_delay_alu instid0(VALU_DEP_3) | instskip(NEXT) | instid1(VALU_DEP_3)
	v_cmp_le_u32_e32 vcc_lo, s74, v0
	v_xor_b32_e32 v7, s75, v7
	s_delay_alu instid0(VALU_DEP_3) | instskip(SKIP_1) | instid1(VALU_DEP_2)
	v_cndmask_b32_e32 v0, v6, v8, vcc_lo
	v_mul_lo_u32 v6, v1, s60
	v_xor_b32_e32 v0, v0, v7
	s_delay_alu instid0(VALU_DEP_2) | instskip(NEXT) | instid1(VALU_DEP_2)
	v_sub_nc_u32_e32 v179, v2, v6
	v_sub_nc_u32_e32 v183, v0, v7
	v_mul_lo_u32 v7, v4, s47
	s_delay_alu instid0(VALU_DEP_2) | instskip(NEXT) | instid1(VALU_DEP_2)
	v_mul_lo_u32 v0, v183, s45
	v_sub_nc_u32_e32 v180, v1, v7
	s_delay_alu instid0(VALU_DEP_2) | instskip(SKIP_1) | instid1(VALU_DEP_2)
	v_sub_nc_u32_e32 v181, v5, v0
	v_mul_lo_u32 v5, v5, s46
	v_mul_lo_u32 v0, v181, s85
	s_delay_alu instid0(VALU_DEP_2) | instskip(NEXT) | instid1(VALU_DEP_2)
	v_sub_nc_u32_e32 v182, v4, v5
	v_add_nc_u32_e32 v8, s85, v0
	s_delay_alu instid0(VALU_DEP_1)
	v_cmpx_lt_i32_e64 v0, v8
	s_cbranch_execz .LBB13_2
; %bb.4:                                ;   in Loop: Header=BB13_3 Depth=1
	v_readlane_b32 s0, v187, 0
	v_readlane_b32 s1, v187, 1
	s_delay_alu instid0(VALU_DEP_2) | instskip(NEXT) | instid1(VALU_DEP_2)
	v_add_nc_u32_e32 v14, s0, v180
	v_add_nc_u32_e32 v7, s1, v179
	v_readlane_b32 s1, v187, 2
	s_delay_alu instid0(VALU_DEP_2) | instskip(SKIP_1) | instid1(VALU_DEP_3)
	v_add_nc_u32_e32 v5, -1, v7
	v_sub_nc_u32_e32 v1, 1, v7
	v_mul_lo_u32 v0, s1, v0
	s_delay_alu instid0(VALU_DEP_2) | instskip(NEXT) | instid1(VALU_DEP_1)
	v_max_i32_e32 v1, v5, v1
	v_mul_hi_u32 v4, v1, v178
	s_delay_alu instid0(VALU_DEP_1) | instskip(NEXT) | instid1(VALU_DEP_1)
	v_mul_lo_u32 v6, v4, s84
	v_sub_nc_u32_e32 v1, v1, v6
	v_add_nc_u32_e32 v6, 1, v4
	s_delay_alu instid0(VALU_DEP_2) | instskip(SKIP_1) | instid1(VALU_DEP_2)
	v_subrev_nc_u32_e32 v8, s84, v1
	v_cmp_le_u32_e32 vcc_lo, s84, v1
	v_dual_cndmask_b32 v4, v4, v6 :: v_dual_cndmask_b32 v1, v1, v8
	v_sub_nc_u32_e32 v9, 0, v7
	v_sub_nc_u32_e32 v10, 2, v7
	s_delay_alu instid0(VALU_DEP_3) | instskip(NEXT) | instid1(VALU_DEP_4)
	v_add_nc_u32_e32 v8, 1, v4
	v_cmp_le_u32_e32 vcc_lo, s84, v1
	v_ashrrev_i32_e32 v1, 31, v0
	v_max_i32_e32 v9, v7, v9
	s_delay_alu instid0(VALU_DEP_4) | instskip(SKIP_4) | instid1(VALU_DEP_4)
	v_cndmask_b32_e32 v4, v4, v8, vcc_lo
	v_ashrrev_i32_e32 v6, 31, v5
	v_add_nc_u32_e32 v8, -2, v7
	v_lshlrev_b64 v[0:1], 3, v[0:1]
	v_mul_hi_u32 v11, v9, v178
	v_xor_b32_e32 v6, s90, v6
	s_delay_alu instid0(VALU_DEP_4) | instskip(NEXT) | instid1(VALU_DEP_4)
	v_max_i32_e32 v10, v8, v10
	v_add_co_u32 v0, vcc_lo, s72, v0
	s_delay_alu instid0(VALU_DEP_3) | instskip(NEXT) | instid1(VALU_DEP_3)
	v_xor_b32_e32 v4, v4, v6
	v_mul_hi_u32 v12, v10, v178
	v_add_co_ci_u32_e32 v1, vcc_lo, s73, v1, vcc_lo
	v_mul_lo_u32 v13, v11, s84
	s_delay_alu instid0(VALU_DEP_4) | instskip(NEXT) | instid1(VALU_DEP_1)
	v_sub_nc_u32_e32 v4, v4, v6
	v_mul_lo_u32 v6, v4, s54
	v_cmp_gt_i32_e64 s43, s51, v4
	s_delay_alu instid0(VALU_DEP_2) | instskip(SKIP_3) | instid1(VALU_DEP_2)
	v_cmp_eq_u32_e32 vcc_lo, v6, v5
	v_mul_lo_u32 v5, v12, s84
	v_sub_nc_u32_e32 v6, v9, v13
	v_add_nc_u32_e32 v9, -1, v14
	v_cmp_le_u32_e64 s0, s84, v6
	s_delay_alu instid0(VALU_DEP_4) | instskip(SKIP_1) | instid1(VALU_DEP_1)
	v_sub_nc_u32_e32 v5, v10, v5
	v_sub_nc_u32_e32 v10, 1, v14
	v_max_i32_e32 v10, v9, v10
	s_delay_alu instid0(VALU_DEP_1) | instskip(NEXT) | instid1(VALU_DEP_1)
	v_mul_hi_u32 v13, v10, v177
	v_mul_lo_u32 v15, v13, s83
	s_delay_alu instid0(VALU_DEP_1) | instskip(SKIP_1) | instid1(VALU_DEP_1)
	v_sub_nc_u32_e32 v10, v10, v15
	v_subrev_nc_u32_e32 v15, s84, v6
	v_cndmask_b32_e64 v6, v6, v15, s0
	v_add_nc_u32_e32 v15, 1, v11
	s_delay_alu instid0(VALU_DEP_1) | instskip(SKIP_2) | instid1(VALU_DEP_1)
	v_cndmask_b32_e64 v11, v11, v15, s0
	v_subrev_nc_u32_e32 v15, s84, v5
	v_cmp_le_u32_e64 s0, s84, v5
	v_cndmask_b32_e64 v5, v5, v15, s0
	v_add_nc_u32_e32 v15, 1, v12
	s_delay_alu instid0(VALU_DEP_1) | instskip(SKIP_2) | instid1(VALU_DEP_1)
	v_cndmask_b32_e64 v12, v12, v15, s0
	v_subrev_nc_u32_e32 v15, s83, v10
	v_cmp_le_u32_e64 s0, s83, v10
	v_cndmask_b32_e64 v10, v10, v15, s0
	v_add_nc_u32_e32 v15, 1, v13
	s_delay_alu instid0(VALU_DEP_1) | instskip(SKIP_2) | instid1(VALU_DEP_1)
	v_cndmask_b32_e64 v13, v13, v15, s0
	v_add_nc_u32_e32 v15, 1, v11
	v_cmp_le_u32_e64 s0, s84, v6
	v_cndmask_b32_e64 v6, v11, v15, s0
	v_add_nc_u32_e32 v11, 1, v12
	v_cmp_le_u32_e64 s0, s84, v5
	s_delay_alu instid0(VALU_DEP_1) | instskip(SKIP_4) | instid1(VALU_DEP_4)
	v_cndmask_b32_e64 v5, v12, v11, s0
	v_ashrrev_i32_e32 v11, 31, v7
	v_cmp_le_u32_e64 s0, s83, v10
	v_sub_nc_u32_e32 v10, 0, v14
	v_ashrrev_i32_e32 v12, 31, v9
	v_xor_b32_e32 v11, s90, v11
	s_delay_alu instid0(VALU_DEP_3) | instskip(NEXT) | instid1(VALU_DEP_3)
	v_max_i32_e32 v10, v14, v10
	v_xor_b32_e32 v12, s89, v12
	s_delay_alu instid0(VALU_DEP_3) | instskip(NEXT) | instid1(VALU_DEP_1)
	v_xor_b32_e32 v6, v6, v11
	v_sub_nc_u32_e32 v6, v6, v11
	v_ashrrev_i32_e32 v11, 31, v8
	s_delay_alu instid0(VALU_DEP_2) | instskip(NEXT) | instid1(VALU_DEP_2)
	v_cmp_gt_i32_e64 s42, s51, v6
	v_xor_b32_e32 v11, s90, v11
	s_delay_alu instid0(VALU_DEP_1) | instskip(NEXT) | instid1(VALU_DEP_1)
	v_xor_b32_e32 v5, v5, v11
	v_sub_nc_u32_e32 v5, v5, v11
	v_mul_lo_u32 v11, v6, s54
	s_delay_alu instid0(VALU_DEP_2) | instskip(NEXT) | instid1(VALU_DEP_2)
	v_cmp_gt_i32_e64 s44, s51, v5
	v_cmp_eq_u32_e64 s12, v11, v7
	v_mul_lo_u32 v11, v5, s54
	v_add_nc_u32_e32 v7, 1, v13
	s_delay_alu instid0(VALU_DEP_1) | instskip(NEXT) | instid1(VALU_DEP_3)
	v_cndmask_b32_e64 v7, v13, v7, s0
	v_cmp_eq_u32_e64 s7, v11, v8
	v_mul_hi_u32 v8, v10, v177
	s_delay_alu instid0(VALU_DEP_3) | instskip(NEXT) | instid1(VALU_DEP_1)
	v_xor_b32_e32 v7, v7, v12
	v_sub_nc_u32_e32 v7, v7, v12
	s_delay_alu instid0(VALU_DEP_3) | instskip(NEXT) | instid1(VALU_DEP_2)
	v_mul_lo_u32 v11, v8, s83
	v_mul_lo_u32 v12, v7, s53
	v_cmp_gt_i32_e64 s34, s50, v7
	s_delay_alu instid0(VALU_DEP_3) | instskip(SKIP_1) | instid1(VALU_DEP_4)
	v_sub_nc_u32_e32 v10, v10, v11
	v_add_nc_u32_e32 v11, -2, v14
	v_cmp_eq_u32_e64 s21, v12, v9
	s_delay_alu instid0(VALU_DEP_3) | instskip(SKIP_2) | instid1(VALU_DEP_2)
	v_subrev_nc_u32_e32 v9, s83, v10
	v_sub_nc_u32_e32 v12, 2, v14
	v_cmp_le_u32_e64 s0, s83, v10
	v_max_i32_e32 v12, v11, v12
	s_delay_alu instid0(VALU_DEP_2) | instskip(SKIP_1) | instid1(VALU_DEP_1)
	v_cndmask_b32_e64 v9, v10, v9, s0
	v_add_nc_u32_e32 v10, 1, v8
	v_cndmask_b32_e64 v8, v8, v10, s0
	s_delay_alu instid0(VALU_DEP_4) | instskip(NEXT) | instid1(VALU_DEP_4)
	v_mul_hi_u32 v10, v12, v177
	v_cmp_le_u32_e64 s0, s83, v9
	s_delay_alu instid0(VALU_DEP_2) | instskip(NEXT) | instid1(VALU_DEP_1)
	v_mul_lo_u32 v13, v10, s83
	v_sub_nc_u32_e32 v12, v12, v13
	v_add_nc_u32_e32 v13, 1, v8
	s_delay_alu instid0(VALU_DEP_2) | instskip(NEXT) | instid1(VALU_DEP_2)
	v_subrev_nc_u32_e32 v9, s83, v12
	v_cndmask_b32_e64 v8, v8, v13, s0
	v_cmp_le_u32_e64 s0, s83, v12
	s_delay_alu instid0(VALU_DEP_1) | instskip(SKIP_1) | instid1(VALU_DEP_1)
	v_cndmask_b32_e64 v12, v12, v9, s0
	v_add_nc_u32_e32 v9, 1, v10
	v_cndmask_b32_e64 v10, v10, v9, s0
	v_ashrrev_i32_e32 v9, 31, v14
	s_delay_alu instid0(VALU_DEP_4) | instskip(SKIP_1) | instid1(VALU_DEP_3)
	v_cmp_le_u32_e64 s0, s83, v12
	v_ashrrev_i32_e32 v12, 31, v11
	v_xor_b32_e32 v9, s89, v9
	s_delay_alu instid0(VALU_DEP_1) | instskip(NEXT) | instid1(VALU_DEP_1)
	v_xor_b32_e32 v8, v8, v9
	v_sub_nc_u32_e32 v9, v8, v9
	v_add_nc_u32_e32 v8, 1, v10
	s_delay_alu instid0(VALU_DEP_2) | instskip(NEXT) | instid1(VALU_DEP_2)
	v_cmp_gt_i32_e64 s37, s50, v9
	v_cndmask_b32_e64 v8, v10, v8, s0
	v_xor_b32_e32 v10, s89, v12
	v_mul_lo_u32 v12, v9, s53
	s_delay_alu instid0(VALU_DEP_4) | instskip(SKIP_1) | instid1(VALU_DEP_2)
	s_and_b32 s91, s43, s37
	s_and_b32 s66, s44, s37
	v_xor_b32_e32 v8, v8, v10
	s_and_b32 s65, s42, s37
	s_delay_alu instid0(VALU_DEP_2) | instskip(NEXT) | instid1(VALU_DEP_2)
	v_cmp_eq_u32_e64 s20, v12, v14
	v_sub_nc_u32_e32 v8, v8, v10
	v_add_nc_u32_e32 v12, s55, v182
	s_delay_alu instid0(VALU_DEP_2) | instskip(NEXT) | instid1(VALU_DEP_2)
	v_mul_lo_u32 v10, v8, s53
	v_add_nc_u32_e32 v13, -1, v12
	v_cmp_gt_i32_e64 s29, s50, v8
	s_delay_alu instid0(VALU_DEP_3) | instskip(NEXT) | instid1(VALU_DEP_3)
	v_cmp_eq_u32_e64 s26, v10, v11
	v_sub_nc_u32_e32 v10, 0, v13
	s_delay_alu instid0(VALU_DEP_1) | instskip(NEXT) | instid1(VALU_DEP_1)
	v_max_i32_e32 v10, v13, v10
	v_mul_hi_u32 v11, v10, v176
	s_delay_alu instid0(VALU_DEP_1) | instskip(NEXT) | instid1(VALU_DEP_1)
	v_mul_lo_u32 v14, v11, s82
	v_sub_nc_u32_e32 v10, v10, v14
	s_delay_alu instid0(VALU_DEP_1) | instskip(SKIP_1) | instid1(VALU_DEP_1)
	v_subrev_nc_u32_e32 v14, s82, v10
	v_cmp_le_u32_e64 s0, s82, v10
	v_cndmask_b32_e64 v10, v10, v14, s0
	v_add_nc_u32_e32 v14, 1, v11
	s_delay_alu instid0(VALU_DEP_1) | instskip(NEXT) | instid1(VALU_DEP_3)
	v_cndmask_b32_e64 v11, v11, v14, s0
	v_cmp_le_u32_e64 s0, s82, v10
	s_delay_alu instid0(VALU_DEP_2) | instskip(NEXT) | instid1(VALU_DEP_1)
	v_add_nc_u32_e32 v14, 1, v11
	v_cndmask_b32_e64 v10, v11, v14, s0
	v_ashrrev_i32_e32 v11, 31, v13
	s_delay_alu instid0(VALU_DEP_1) | instskip(NEXT) | instid1(VALU_DEP_1)
	v_xor_b32_e32 v11, s88, v11
	v_xor_b32_e32 v10, v10, v11
	s_delay_alu instid0(VALU_DEP_1) | instskip(NEXT) | instid1(VALU_DEP_1)
	v_sub_nc_u32_e32 v10, v10, v11
	v_mul_lo_u32 v11, v10, s52
	v_cmp_gt_i32_e64 s38, s49, v10
	s_delay_alu instid0(VALU_DEP_2) | instskip(SKIP_1) | instid1(VALU_DEP_1)
	v_cmp_eq_u32_e64 s17, v11, v13
	v_sub_nc_u32_e32 v11, 0, v12
	v_max_i32_e32 v11, v12, v11
	s_delay_alu instid0(VALU_DEP_1) | instskip(NEXT) | instid1(VALU_DEP_1)
	v_mul_hi_u32 v13, v11, v176
	v_mul_lo_u32 v14, v13, s82
	s_delay_alu instid0(VALU_DEP_1) | instskip(NEXT) | instid1(VALU_DEP_1)
	v_sub_nc_u32_e32 v11, v11, v14
	v_subrev_nc_u32_e32 v14, s82, v11
	v_cmp_le_u32_e64 s0, s82, v11
	s_delay_alu instid0(VALU_DEP_1) | instskip(SKIP_1) | instid1(VALU_DEP_1)
	v_cndmask_b32_e64 v11, v11, v14, s0
	v_add_nc_u32_e32 v14, 1, v13
	v_cndmask_b32_e64 v13, v13, v14, s0
	s_delay_alu instid0(VALU_DEP_3) | instskip(NEXT) | instid1(VALU_DEP_2)
	v_cmp_le_u32_e64 s0, s82, v11
	v_add_nc_u32_e32 v14, 1, v13
	s_delay_alu instid0(VALU_DEP_1) | instskip(SKIP_1) | instid1(VALU_DEP_1)
	v_cndmask_b32_e64 v11, v13, v14, s0
	v_ashrrev_i32_e32 v13, 31, v12
	v_xor_b32_e32 v13, s88, v13
	s_delay_alu instid0(VALU_DEP_1) | instskip(NEXT) | instid1(VALU_DEP_1)
	v_xor_b32_e32 v11, v11, v13
	v_sub_nc_u32_e32 v13, v11, v13
	s_delay_alu instid0(VALU_DEP_1) | instskip(SKIP_1) | instid1(VALU_DEP_2)
	v_mul_lo_u32 v11, v13, s52
	v_cmp_gt_i32_e64 s36, s49, v13
	v_cmp_eq_u32_e64 s6, v11, v12
	v_add_nc_u32_e32 v11, -2, v12
	s_delay_alu instid0(VALU_DEP_2) | instskip(NEXT) | instid1(VALU_DEP_1)
	s_and_b32 s64, s6, s20
	v_sub_nc_u32_e32 v12, 0, v11
	s_delay_alu instid0(VALU_DEP_1) | instskip(NEXT) | instid1(VALU_DEP_1)
	v_max_i32_e32 v12, v11, v12
	v_mul_hi_u32 v14, v12, v176
	s_delay_alu instid0(VALU_DEP_1) | instskip(NEXT) | instid1(VALU_DEP_1)
	v_mul_lo_u32 v15, v14, s82
	v_sub_nc_u32_e32 v12, v12, v15
	s_delay_alu instid0(VALU_DEP_1) | instskip(SKIP_1) | instid1(VALU_DEP_1)
	v_subrev_nc_u32_e32 v15, s82, v12
	v_cmp_le_u32_e64 s0, s82, v12
	v_cndmask_b32_e64 v12, v12, v15, s0
	v_add_nc_u32_e32 v15, 1, v14
	s_delay_alu instid0(VALU_DEP_1) | instskip(NEXT) | instid1(VALU_DEP_3)
	v_cndmask_b32_e64 v14, v14, v15, s0
	v_cmp_le_u32_e64 s0, s82, v12
	s_delay_alu instid0(VALU_DEP_2) | instskip(NEXT) | instid1(VALU_DEP_1)
	v_add_nc_u32_e32 v15, 1, v14
	v_cndmask_b32_e64 v12, v14, v15, s0
	v_ashrrev_i32_e32 v14, 31, v11
	v_readlane_b32 s0, v187, 3
	v_readlane_b32 s1, v187, 4
	s_delay_alu instid0(VALU_DEP_3) | instskip(NEXT) | instid1(VALU_DEP_1)
	v_xor_b32_e32 v14, s88, v14
	v_xor_b32_e32 v12, v12, v14
	s_delay_alu instid0(VALU_DEP_1) | instskip(NEXT) | instid1(VALU_DEP_1)
	v_sub_nc_u32_e32 v14, v12, v14
	v_mul_lo_u32 v12, v14, s52
	v_cmp_gt_i32_e64 s28, s49, v14
	s_delay_alu instid0(VALU_DEP_2) | instskip(SKIP_1) | instid1(VALU_DEP_1)
	v_cmp_eq_u32_e64 s27, v12, v11
	v_mul_lo_u32 v11, s68, v183
	v_ashrrev_i32_e32 v12, 31, v11
	s_delay_alu instid0(VALU_DEP_1) | instskip(NEXT) | instid1(VALU_DEP_1)
	v_lshlrev_b64 v[11:12], 3, v[11:12]
	v_add_co_u32 v184, s0, s0, v11
	v_or_b32_e32 v11, v6, v9
	s_delay_alu instid0(VALU_DEP_3) | instskip(NEXT) | instid1(VALU_DEP_2)
	v_add_co_ci_u32_e64 v185, s0, s1, v12, s0
	v_or_b32_e32 v12, v11, v13
	s_delay_alu instid0(VALU_DEP_1) | instskip(SKIP_1) | instid1(VALU_DEP_2)
	v_cmp_lt_i32_e64 s0, -1, v12
	v_or_b32_e32 v12, v4, v9
	s_and_b32 s0, s42, s0
	s_delay_alu instid0(VALU_DEP_1) | instskip(SKIP_1) | instid1(SALU_CYCLE_1)
	v_or_b32_e32 v15, v12, v13
	s_and_b32 s0, s0, s37
	s_and_b32 s93, s0, s36
	s_delay_alu instid0(VALU_DEP_1) | instskip(SKIP_1) | instid1(VALU_DEP_2)
	v_cmp_lt_i32_e64 s1, -1, v15
	v_or_b32_e32 v15, v5, v9
	s_and_b32 s0, s43, s1
	s_delay_alu instid0(VALU_DEP_1) | instskip(SKIP_3) | instid1(VALU_DEP_1)
	v_or_b32_e32 v16, v15, v13
	s_and_b32 s1, s0, s37
	s_and_b32 s0, s64, s12
	;; [unrolled: 1-line block ×3, first 2 shown]
	v_cmp_lt_i32_e64 s2, -1, v16
	v_or_b32_e32 v16, v6, v7
	s_delay_alu instid0(VALU_DEP_2) | instskip(NEXT) | instid1(VALU_DEP_1)
	s_and_b32 s1, s44, s2
	v_or_b32_e32 v17, v16, v13
	s_and_b32 s2, s1, s37
	s_and_b32 s1, s64, vcc_lo
	s_and_b32 s95, s2, s36
	s_and_b32 s2, s64, s7
	v_cmp_lt_i32_e64 s3, -1, v17
	v_or_b32_e32 v17, v4, v7
	s_and_b32 s64, s6, s21
	s_delay_alu instid0(VALU_DEP_2) | instskip(NEXT) | instid1(VALU_DEP_1)
	s_and_b32 s3, s42, s3
	v_or_b32_e32 v18, v17, v13
	s_and_b32 s3, s3, s34
	s_delay_alu instid0(SALU_CYCLE_1) | instskip(NEXT) | instid1(VALU_DEP_1)
	s_and_b32 s96, s3, s36
	v_cmp_lt_i32_e64 s4, -1, v18
	v_or_b32_e32 v18, v5, v7
	s_delay_alu instid0(VALU_DEP_2) | instskip(NEXT) | instid1(VALU_DEP_1)
	s_and_b32 s3, s43, s4
	v_or_b32_e32 v19, v18, v13
	s_and_b32 s4, s3, s34
	s_and_b32 s3, s64, s12
	;; [unrolled: 1-line block ×3, first 2 shown]
	s_delay_alu instid0(VALU_DEP_1) | instskip(SKIP_1) | instid1(VALU_DEP_2)
	v_cmp_lt_i32_e64 s5, -1, v19
	v_or_b32_e32 v19, v6, v8
	s_and_b32 s4, s44, s5
	s_delay_alu instid0(VALU_DEP_1)
	v_or_b32_e32 v20, v19, v13
	s_and_b32 s5, s4, s34
	s_and_b32 s4, s64, vcc_lo
	s_and_b32 s98, s5, s36
	s_and_b32 s5, s64, s7
	v_cmp_lt_i32_e64 s8, -1, v20
	v_or_b32_e32 v20, v4, v8
	s_and_b32 s64, s6, s26
	s_delay_alu instid0(VALU_DEP_2) | instskip(NEXT) | instid1(VALU_DEP_1)
	s_and_b32 s8, s42, s8
	v_or_b32_e32 v21, v20, v13
	s_and_b32 s8, s8, s29
	s_delay_alu instid0(SALU_CYCLE_1) | instskip(NEXT) | instid1(VALU_DEP_1)
	s_and_b32 s99, s8, s36
	v_cmp_lt_i32_e64 s9, -1, v21
	v_or_b32_e32 v21, v5, v8
	s_delay_alu instid0(VALU_DEP_2) | instskip(NEXT) | instid1(VALU_DEP_1)
	s_and_b32 s6, s43, s9
	v_or_b32_e32 v22, v21, v13
	s_and_b32 s8, s6, s29
	s_and_b32 s6, s64, s12
	;; [unrolled: 1-line block ×3, first 2 shown]
	s_delay_alu instid0(VALU_DEP_1) | instskip(SKIP_2) | instid1(VALU_DEP_3)
	v_cmp_lt_i32_e64 s35, -1, v22
	v_or_b32_e32 v22, v11, v10
	v_or_b32_e32 v11, v11, v14
	s_and_b32 s8, s44, s35
	s_delay_alu instid0(VALU_DEP_2) | instskip(SKIP_1) | instid1(VALU_DEP_3)
	v_cmp_lt_i32_e64 s31, -1, v22
	v_or_b32_e32 v22, v12, v10
	v_cmp_lt_i32_e64 s22, -1, v11
	v_or_b32_e32 v11, v12, v14
	v_or_b32_e32 v12, v19, v14
	s_and_b32 s9, s8, s29
	v_cmp_lt_i32_e64 s10, -1, v22
	v_or_b32_e32 v22, v15, v10
	v_cmp_lt_i32_e64 s23, -1, v11
	v_or_b32_e32 v11, v15, v14
	v_or_b32_e32 v15, v21, v14
	s_and_b32 s8, s64, vcc_lo
	v_cmp_lt_i32_e64 s11, -1, v22
	v_or_b32_e32 v22, v16, v10
	v_cmp_lt_i32_e64 s24, -1, v11
	v_or_b32_e32 v11, v16, v14
	s_and_b32 s35, s9, s36
	s_and_b32 s9, s64, s7
	v_cmp_lt_i32_e64 s13, -1, v22
	v_or_b32_e32 v22, v17, v10
	v_cmp_lt_i32_e64 s25, -1, v11
	v_or_b32_e32 v11, v17, v14
	s_and_b32 s64, s17, s20
	s_and_b32 s67, s42, s13
	;; [unrolled: 6-line block ×3, first 2 shown]
	v_cmp_lt_i32_e64 s15, -1, v22
	v_or_b32_e32 v22, v19, v10
	v_cmp_lt_i32_e64 s33, -1, v11
	v_mul_lo_u32 v11, v13, s50
	v_or_b32_e32 v13, v20, v14
	v_mul_lo_u32 v14, v14, s50
	v_cmp_lt_i32_e64 s16, -1, v22
	v_or_b32_e32 v22, v20, v10
	s_and_b32 s37, s66, s11
	s_and_b32 s11, s64, vcc_lo
	s_and_b32 s13, s64, s7
	v_add_nc_u32_e32 v16, v9, v11
	v_cmp_lt_i32_e64 s19, -1, v22
	v_or_b32_e32 v22, v21, v10
	v_mul_lo_u32 v10, v10, s50
	v_add_nc_u32_e32 v17, v7, v11
	v_add_nc_u32_e32 v18, v8, v11
	;; [unrolled: 1-line block ×5, first 2 shown]
	v_mul_lo_u32 v11, v16, s51
	v_mul_lo_u32 v17, v17, s51
	v_add_nc_u32_e32 v23, v9, v10
	v_add_nc_u32_e32 v29, v7, v10
	;; [unrolled: 1-line block ×3, first 2 shown]
	v_mul_lo_u32 v24, v18, s51
	v_mul_lo_u32 v48, v41, s51
	;; [unrolled: 1-line block ×7, first 2 shown]
	s_and_b32 s64, s67, s34
	s_and_b32 s14, s43, s14
	v_cmp_lt_i32_e64 s40, -1, v13
	v_cmp_lt_i32_e64 s41, -1, v15
	v_add_nc_u32_e32 v7, v6, v11
	v_add_nc_u32_e32 v9, v4, v11
	;; [unrolled: 1-line block ×12, first 2 shown]
	s_and_b32 s101, s64, s38
	v_add_nc_u32_e32 v31, v6, v36
	s_and_b32 s64, s14, s34
	v_add_nc_u32_e32 v33, v4, v36
	;; [unrolled: 2-line block ×3, first 2 shown]
	v_add_nc_u32_e32 v37, v6, v42
	v_add_nc_u32_e32 v39, v4, v42
	v_add_nc_u32_e32 v41, v5, v42
	v_add_nc_u32_e32 v43, v6, v48
	v_add_nc_u32_e32 v45, v4, v48
	v_add_nc_u32_e32 v47, v5, v48
	v_add_nc_u32_e32 v49, v6, v54
	v_add_nc_u32_e32 v51, v4, v54
	v_add_nc_u32_e32 v53, v5, v54
	v_add_nc_u32_e32 v55, v6, v58
	v_add_nc_u32_e32 v57, v4, v58
	v_add_nc_u32_e32 v59, v5, v58
	s_and_b32 s102, s64, s38
	s_and_b32 s64, s15, s34
	;; [unrolled: 1-line block ×3, first 2 shown]
	v_cmp_lt_i32_e64 s18, -1, v22
	s_and_b32 s67, s17, s21
	s_and_b32 s103, s64, s38
	;; [unrolled: 1-line block ×7, first 2 shown]
	v_cmp_lt_i32_e64 s39, -1, v12
	v_ashrrev_i32_e32 v8, 31, v7
	v_ashrrev_i32_e32 v10, 31, v9
	v_ashrrev_i32_e32 v12, 31, v11
	v_ashrrev_i32_e32 v14, 31, v13
	v_ashrrev_i32_e32 v16, 31, v15
	v_ashrrev_i32_e32 v18, 31, v17
	v_ashrrev_i32_e32 v20, 31, v19
	v_ashrrev_i32_e32 v22, 31, v21
	v_ashrrev_i32_e32 v24, 31, v23
	v_ashrrev_i32_e32 v26, 31, v25
	v_ashrrev_i32_e32 v28, 31, v27
	v_ashrrev_i32_e32 v30, 31, v29
	v_ashrrev_i32_e32 v32, 31, v31
	v_ashrrev_i32_e32 v34, 31, v33
	v_ashrrev_i32_e32 v36, 31, v35
	v_ashrrev_i32_e32 v38, 31, v37
	v_ashrrev_i32_e32 v40, 31, v39
	v_ashrrev_i32_e32 v42, 31, v41
	v_ashrrev_i32_e32 v44, 31, v43
	v_ashrrev_i32_e32 v46, 31, v45
	v_ashrrev_i32_e32 v48, 31, v47
	v_ashrrev_i32_e32 v50, 31, v49
	v_ashrrev_i32_e32 v52, 31, v51
	v_ashrrev_i32_e32 v54, 31, v53
	v_ashrrev_i32_e32 v56, 31, v55
	v_ashrrev_i32_e32 v58, 31, v57
	v_ashrrev_i32_e32 v60, 31, v59
	s_and_b32 s31, s65, s31
	s_and_b32 s14, s67, s12
	s_and_b32 s15, s67, vcc_lo
	s_and_b32 s16, s67, s7
	s_and_b32 s64, s64, s29
	;; [unrolled: 1-line block ×13, first 2 shown]
	s_and_b32 s22, s65, vcc_lo
	s_and_b32 s64, s23, s28
	s_and_b32 s23, s65, s7
	;; [unrolled: 1-line block ×4, first 2 shown]
	s_and_b32 vcc_hi, s19, s38
	s_and_b32 s19, s18, s29
	s_and_b32 s30, s24, s28
	;; [unrolled: 1-line block ×4, first 2 shown]
	v_lshlrev_b64 v[4:5], 3, v[7:8]
	v_lshlrev_b64 v[6:7], 3, v[9:10]
	;; [unrolled: 1-line block ×27, first 2 shown]
	v_mov_b32_e32 v58, 0
	v_mov_b32_e32 v59, 0
	s_and_b32 s31, s31, s38
	s_and_b32 s36, s36, s38
	s_and_b32 s37, s37, s38
	s_and_b32 s17, s67, s12
	s_and_b32 s18, s67, vcc_lo
	s_and_b32 s38, s19, s38
	s_and_b32 s19, s67, s7
	;; [unrolled: 1-line block ×4, first 2 shown]
	s_and_b32 s24, s25, vcc_lo
	s_and_b32 s34, s42, s39
	s_and_b32 s25, s25, s7
	;; [unrolled: 1-line block ×3, first 2 shown]
	s_and_b32 vcc_lo, s26, vcc_lo
	s_and_b32 s7, s26, s7
	s_mul_i32 s26, s69, s85
	s_and_b32 s34, s34, s29
	v_mul_lo_u32 v60, s26, v181
	s_and_b32 s27, s34, s28
	s_and_b32 s34, s43, s40
	;; [unrolled: 1-line block ×3, first 2 shown]
	v_dual_mov_b32 v63, v59 :: v_dual_mov_b32 v62, v58
	s_and_b32 s34, s34, s29
	s_and_b32 s29, s39, s29
	s_and_b32 s33, s33, s28
	s_and_b32 s34, s34, s28
	s_and_b32 s28, s29, s28
	s_mov_b32 s29, s85
	s_branch .LBB13_6
.LBB13_5:                               ;   in Loop: Header=BB13_6 Depth=2
	s_or_b32 exec_lo, exec_lo, s39
	s_waitcnt vmcnt(26)
	v_fma_f64 v[64:65], v[64:65], v[66:67], v[62:63]
	v_add_co_u32 v0, s26, 0xd8, v0
	s_delay_alu instid0(VALU_DEP_1) | instskip(SKIP_2) | instid1(SALU_CYCLE_1)
	v_add_co_ci_u32_e64 v1, s26, 0, v1, s26
	v_add_nc_u32_e32 v60, s69, v60
	s_add_i32 s29, s29, -1
	s_cmp_eq_u32 s29, 0
	s_delay_alu instid0(VALU_DEP_4) | instskip(SKIP_2) | instid1(VALU_DEP_1)
	v_cndmask_b32_e64 v63, v63, v65, s0
	v_cndmask_b32_e64 v62, v62, v64, s0
	s_waitcnt vmcnt(25)
	v_fma_f64 v[64:65], v[68:69], v[72:73], v[62:63]
	s_delay_alu instid0(VALU_DEP_1) | instskip(NEXT) | instid1(VALU_DEP_2)
	v_cndmask_b32_e64 v63, v63, v65, s1
	v_cndmask_b32_e64 v62, v62, v64, s1
	s_waitcnt vmcnt(24)
	s_delay_alu instid0(VALU_DEP_1) | instskip(NEXT) | instid1(VALU_DEP_1)
	v_fma_f64 v[64:65], v[74:75], v[70:71], v[62:63]
	v_cndmask_b32_e64 v63, v63, v65, s2
	s_delay_alu instid0(VALU_DEP_2) | instskip(SKIP_1) | instid1(VALU_DEP_1)
	v_cndmask_b32_e64 v62, v62, v64, s2
	s_waitcnt vmcnt(23)
	v_fma_f64 v[64:65], v[76:77], v[80:81], v[62:63]
	s_delay_alu instid0(VALU_DEP_1) | instskip(NEXT) | instid1(VALU_DEP_2)
	v_cndmask_b32_e64 v63, v63, v65, s3
	v_cndmask_b32_e64 v62, v62, v64, s3
	s_waitcnt vmcnt(22)
	s_delay_alu instid0(VALU_DEP_1) | instskip(NEXT) | instid1(VALU_DEP_1)
	v_fma_f64 v[64:65], v[82:83], v[78:79], v[62:63]
	v_cndmask_b32_e64 v63, v63, v65, s4
	s_delay_alu instid0(VALU_DEP_2) | instskip(SKIP_1) | instid1(VALU_DEP_1)
	;; [unrolled: 11-line block ×12, first 2 shown]
	v_cndmask_b32_e64 v62, v62, v64, s12
	s_waitcnt vmcnt(1)
	v_fma_f64 v[64:65], v[164:165], v[168:169], v[62:63]
	s_delay_alu instid0(VALU_DEP_1) | instskip(SKIP_1) | instid1(VALU_DEP_1)
	v_dual_cndmask_b32 v63, v63, v65 :: v_dual_cndmask_b32 v62, v62, v64
	s_waitcnt vmcnt(0)
	v_fma_f64 v[64:65], v[170:171], v[166:167], v[62:63]
	s_delay_alu instid0(VALU_DEP_1) | instskip(NEXT) | instid1(VALU_DEP_2)
	v_cndmask_b32_e64 v63, v63, v65, s7
	v_cndmask_b32_e64 v62, v62, v64, s7
	s_cbranch_scc1 .LBB13_2
.LBB13_6:                               ;   Parent Loop BB13_3 Depth=1
                                        ; =>  This Inner Loop Header: Depth=2
	global_load_b64 v[64:65], v[0:1], off
	v_ashrrev_i32_e32 v61, 31, v60
	s_delay_alu instid0(VALU_DEP_1) | instskip(NEXT) | instid1(VALU_DEP_1)
	v_lshlrev_b64 v[66:67], 3, v[60:61]
	v_add_co_u32 v61, s26, v184, v66
	s_delay_alu instid0(VALU_DEP_1)
	v_add_co_ci_u32_e64 v186, s26, v185, v67, s26
	v_dual_mov_b32 v67, v59 :: v_dual_mov_b32 v66, v58
	s_and_saveexec_b32 s39, s93
	s_cbranch_execz .LBB13_8
; %bb.7:                                ;   in Loop: Header=BB13_6 Depth=2
	v_add_co_u32 v66, s26, v61, v4
	s_delay_alu instid0(VALU_DEP_1)
	v_add_co_ci_u32_e64 v67, s26, v186, v5, s26
	global_load_b64 v[66:67], v[66:67], off
.LBB13_8:                               ;   in Loop: Header=BB13_6 Depth=2
	s_or_b32 exec_lo, exec_lo, s39
	global_load_b64 v[68:69], v[0:1], off offset:8
	v_mov_b32_e32 v70, 0
	v_mov_b32_e32 v71, 0
	s_delay_alu instid0(VALU_DEP_1)
	v_dual_mov_b32 v73, v71 :: v_dual_mov_b32 v72, v70
	s_and_saveexec_b32 s39, s94
	s_cbranch_execz .LBB13_10
; %bb.9:                                ;   in Loop: Header=BB13_6 Depth=2
	v_add_co_u32 v72, s26, v61, v6
	s_delay_alu instid0(VALU_DEP_1)
	v_add_co_ci_u32_e64 v73, s26, v186, v7, s26
	global_load_b64 v[72:73], v[72:73], off
.LBB13_10:                              ;   in Loop: Header=BB13_6 Depth=2
	s_or_b32 exec_lo, exec_lo, s39
	global_load_b64 v[74:75], v[0:1], off offset:16
	s_and_saveexec_b32 s39, s95
	s_cbranch_execz .LBB13_12
; %bb.11:                               ;   in Loop: Header=BB13_6 Depth=2
	v_add_co_u32 v70, s26, v61, v8
	s_delay_alu instid0(VALU_DEP_1)
	v_add_co_ci_u32_e64 v71, s26, v186, v9, s26
	global_load_b64 v[70:71], v[70:71], off
.LBB13_12:                              ;   in Loop: Header=BB13_6 Depth=2
	s_or_b32 exec_lo, exec_lo, s39
	global_load_b64 v[76:77], v[0:1], off offset:24
	v_mov_b32_e32 v78, 0
	v_mov_b32_e32 v79, 0
	s_delay_alu instid0(VALU_DEP_1)
	v_dual_mov_b32 v81, v79 :: v_dual_mov_b32 v80, v78
	s_and_saveexec_b32 s39, s96
	s_cbranch_execz .LBB13_14
; %bb.13:                               ;   in Loop: Header=BB13_6 Depth=2
	v_add_co_u32 v80, s26, v61, v10
	s_delay_alu instid0(VALU_DEP_1)
	v_add_co_ci_u32_e64 v81, s26, v186, v11, s26
	global_load_b64 v[80:81], v[80:81], off
.LBB13_14:                              ;   in Loop: Header=BB13_6 Depth=2
	s_or_b32 exec_lo, exec_lo, s39
	global_load_b64 v[82:83], v[0:1], off offset:32
	s_and_saveexec_b32 s39, s97
	s_cbranch_execz .LBB13_16
; %bb.15:                               ;   in Loop: Header=BB13_6 Depth=2
	v_add_co_u32 v78, s26, v61, v12
	s_delay_alu instid0(VALU_DEP_1)
	v_add_co_ci_u32_e64 v79, s26, v186, v13, s26
	global_load_b64 v[78:79], v[78:79], off
.LBB13_16:                              ;   in Loop: Header=BB13_6 Depth=2
	s_or_b32 exec_lo, exec_lo, s39
	global_load_b64 v[84:85], v[0:1], off offset:40
	v_mov_b32_e32 v86, 0
	v_mov_b32_e32 v87, 0
	s_delay_alu instid0(VALU_DEP_1)
	v_dual_mov_b32 v89, v87 :: v_dual_mov_b32 v88, v86
	s_and_saveexec_b32 s39, s98
	s_cbranch_execz .LBB13_18
; %bb.17:                               ;   in Loop: Header=BB13_6 Depth=2
	v_add_co_u32 v88, s26, v61, v14
	s_delay_alu instid0(VALU_DEP_1)
	v_add_co_ci_u32_e64 v89, s26, v186, v15, s26
	global_load_b64 v[88:89], v[88:89], off
.LBB13_18:                              ;   in Loop: Header=BB13_6 Depth=2
	;; [unrolled: 24-line block ×7, first 2 shown]
	s_or_b32 exec_lo, exec_lo, s39
	global_load_b64 v[130:131], v[0:1], off offset:128
	s_and_saveexec_b32 s39, vcc_hi
	s_cbranch_execz .LBB13_40
; %bb.39:                               ;   in Loop: Header=BB13_6 Depth=2
	v_add_co_u32 v126, s26, v61, v36
	s_delay_alu instid0(VALU_DEP_1)
	v_add_co_ci_u32_e64 v127, s26, v186, v37, s26
	global_load_b64 v[126:127], v[126:127], off
.LBB13_40:                              ;   in Loop: Header=BB13_6 Depth=2
	s_or_b32 exec_lo, exec_lo, s39
	global_load_b64 v[132:133], v[0:1], off offset:136
	v_mov_b32_e32 v134, 0
	v_mov_b32_e32 v135, 0
	s_delay_alu instid0(VALU_DEP_1)
	v_dual_mov_b32 v137, v135 :: v_dual_mov_b32 v136, v134
	s_and_saveexec_b32 s39, s38
	s_cbranch_execz .LBB13_42
; %bb.41:                               ;   in Loop: Header=BB13_6 Depth=2
	v_add_co_u32 v136, s26, v61, v38
	s_delay_alu instid0(VALU_DEP_1)
	v_add_co_ci_u32_e64 v137, s26, v186, v39, s26
	global_load_b64 v[136:137], v[136:137], off
.LBB13_42:                              ;   in Loop: Header=BB13_6 Depth=2
	s_or_b32 exec_lo, exec_lo, s39
	global_load_b64 v[138:139], v[0:1], off offset:144
	s_and_saveexec_b32 s39, s77
	s_cbranch_execz .LBB13_44
; %bb.43:                               ;   in Loop: Header=BB13_6 Depth=2
	v_add_co_u32 v134, s26, v61, v40
	s_delay_alu instid0(VALU_DEP_1)
	v_add_co_ci_u32_e64 v135, s26, v186, v41, s26
	global_load_b64 v[134:135], v[134:135], off
.LBB13_44:                              ;   in Loop: Header=BB13_6 Depth=2
	s_or_b32 exec_lo, exec_lo, s39
	global_load_b64 v[140:141], v[0:1], off offset:152
	v_mov_b32_e32 v142, 0
	v_mov_b32_e32 v143, 0
	s_delay_alu instid0(VALU_DEP_1)
	v_dual_mov_b32 v145, v143 :: v_dual_mov_b32 v144, v142
	s_and_saveexec_b32 s39, s91
	s_cbranch_execz .LBB13_46
; %bb.45:                               ;   in Loop: Header=BB13_6 Depth=2
	v_add_co_u32 v144, s26, v61, v42
	s_delay_alu instid0(VALU_DEP_1)
	v_add_co_ci_u32_e64 v145, s26, v186, v43, s26
	global_load_b64 v[144:145], v[144:145], off
.LBB13_46:                              ;   in Loop: Header=BB13_6 Depth=2
	s_or_b32 exec_lo, exec_lo, s39
	global_load_b64 v[146:147], v[0:1], off offset:160
	s_and_saveexec_b32 s39, s64
	;; [unrolled: 24-line block ×5, first 2 shown]
	s_cbranch_execz .LBB13_5
; %bb.59:                               ;   in Loop: Header=BB13_6 Depth=2
	v_add_co_u32 v166, s26, v61, v56
	s_delay_alu instid0(VALU_DEP_1)
	v_add_co_ci_u32_e64 v167, s26, v186, v57, s26
	global_load_b64 v[166:167], v[166:167], off
	s_branch .LBB13_5
.LBB13_60:
	s_nop 0
	s_sendmsg sendmsg(MSG_DEALLOC_VGPRS)
	s_endpgm
	.section	.rodata,"a",@progbits
	.p2align	6, 0x0
	.amdhsa_kernel _ZN2at6native12_GLOBAL__N_143conv_depthwise3d_cuda_backward_input_kernelIddLi3ELi3ELi3ELi1ELi1ELi1ELin1ELin1ELin1EEEvN5torch10headeronly6detail27GenericPackedTensorAccessorINS5_14TensorAccessorIN3c108ArrayRefIlEEKT_Lm4ENS4_16DefaultPtrTraitsEiEENS_6detail16IndexBoundsCheckILm5EiEESC_Lm5ESD_iEENS6_INS7_ISA_SB_Lm4ESD_iEESH_SB_Lm5ESD_iEESI_iiiiiiiii
		.amdhsa_group_segment_fixed_size 0
		.amdhsa_private_segment_fixed_size 0
		.amdhsa_kernarg_size 440
		.amdhsa_user_sgpr_count 15
		.amdhsa_user_sgpr_dispatch_ptr 0
		.amdhsa_user_sgpr_queue_ptr 0
		.amdhsa_user_sgpr_kernarg_segment_ptr 1
		.amdhsa_user_sgpr_dispatch_id 0
		.amdhsa_user_sgpr_private_segment_size 0
		.amdhsa_wavefront_size32 1
		.amdhsa_uses_dynamic_stack 0
		.amdhsa_enable_private_segment 0
		.amdhsa_system_sgpr_workgroup_id_x 1
		.amdhsa_system_sgpr_workgroup_id_y 0
		.amdhsa_system_sgpr_workgroup_id_z 0
		.amdhsa_system_sgpr_workgroup_info 0
		.amdhsa_system_vgpr_workitem_id 0
		.amdhsa_next_free_vgpr 188
		.amdhsa_next_free_sgpr 105
		.amdhsa_reserve_vcc 1
		.amdhsa_float_round_mode_32 0
		.amdhsa_float_round_mode_16_64 0
		.amdhsa_float_denorm_mode_32 3
		.amdhsa_float_denorm_mode_16_64 3
		.amdhsa_dx10_clamp 1
		.amdhsa_ieee_mode 1
		.amdhsa_fp16_overflow 0
		.amdhsa_workgroup_processor_mode 1
		.amdhsa_memory_ordered 1
		.amdhsa_forward_progress 0
		.amdhsa_shared_vgpr_count 0
		.amdhsa_exception_fp_ieee_invalid_op 0
		.amdhsa_exception_fp_denorm_src 0
		.amdhsa_exception_fp_ieee_div_zero 0
		.amdhsa_exception_fp_ieee_overflow 0
		.amdhsa_exception_fp_ieee_underflow 0
		.amdhsa_exception_fp_ieee_inexact 0
		.amdhsa_exception_int_div_zero 0
	.end_amdhsa_kernel
	.section	.text._ZN2at6native12_GLOBAL__N_143conv_depthwise3d_cuda_backward_input_kernelIddLi3ELi3ELi3ELi1ELi1ELi1ELin1ELin1ELin1EEEvN5torch10headeronly6detail27GenericPackedTensorAccessorINS5_14TensorAccessorIN3c108ArrayRefIlEEKT_Lm4ENS4_16DefaultPtrTraitsEiEENS_6detail16IndexBoundsCheckILm5EiEESC_Lm5ESD_iEENS6_INS7_ISA_SB_Lm4ESD_iEESH_SB_Lm5ESD_iEESI_iiiiiiiii,"axG",@progbits,_ZN2at6native12_GLOBAL__N_143conv_depthwise3d_cuda_backward_input_kernelIddLi3ELi3ELi3ELi1ELi1ELi1ELin1ELin1ELin1EEEvN5torch10headeronly6detail27GenericPackedTensorAccessorINS5_14TensorAccessorIN3c108ArrayRefIlEEKT_Lm4ENS4_16DefaultPtrTraitsEiEENS_6detail16IndexBoundsCheckILm5EiEESC_Lm5ESD_iEENS6_INS7_ISA_SB_Lm4ESD_iEESH_SB_Lm5ESD_iEESI_iiiiiiiii,comdat
.Lfunc_end13:
	.size	_ZN2at6native12_GLOBAL__N_143conv_depthwise3d_cuda_backward_input_kernelIddLi3ELi3ELi3ELi1ELi1ELi1ELin1ELin1ELin1EEEvN5torch10headeronly6detail27GenericPackedTensorAccessorINS5_14TensorAccessorIN3c108ArrayRefIlEEKT_Lm4ENS4_16DefaultPtrTraitsEiEENS_6detail16IndexBoundsCheckILm5EiEESC_Lm5ESD_iEENS6_INS7_ISA_SB_Lm4ESD_iEESH_SB_Lm5ESD_iEESI_iiiiiiiii, .Lfunc_end13-_ZN2at6native12_GLOBAL__N_143conv_depthwise3d_cuda_backward_input_kernelIddLi3ELi3ELi3ELi1ELi1ELi1ELin1ELin1ELin1EEEvN5torch10headeronly6detail27GenericPackedTensorAccessorINS5_14TensorAccessorIN3c108ArrayRefIlEEKT_Lm4ENS4_16DefaultPtrTraitsEiEENS_6detail16IndexBoundsCheckILm5EiEESC_Lm5ESD_iEENS6_INS7_ISA_SB_Lm4ESD_iEESH_SB_Lm5ESD_iEESI_iiiiiiiii
                                        ; -- End function
	.section	.AMDGPU.csdata,"",@progbits
; Kernel info:
; codeLenInByte = 6948
; NumSgprs: 107
; NumVgprs: 188
; ScratchSize: 0
; MemoryBound: 0
; FloatMode: 240
; IeeeMode: 1
; LDSByteSize: 0 bytes/workgroup (compile time only)
; SGPRBlocks: 13
; VGPRBlocks: 23
; NumSGPRsForWavesPerEU: 107
; NumVGPRsForWavesPerEU: 188
; Occupancy: 8
; WaveLimiterHint : 0
; COMPUTE_PGM_RSRC2:SCRATCH_EN: 0
; COMPUTE_PGM_RSRC2:USER_SGPR: 15
; COMPUTE_PGM_RSRC2:TRAP_HANDLER: 0
; COMPUTE_PGM_RSRC2:TGID_X_EN: 1
; COMPUTE_PGM_RSRC2:TGID_Y_EN: 0
; COMPUTE_PGM_RSRC2:TGID_Z_EN: 0
; COMPUTE_PGM_RSRC2:TIDIG_COMP_CNT: 0
	.section	.text._ZN2at6native12_GLOBAL__N_143conv_depthwise3d_cuda_backward_input_kernelIddLi3ELi3ELi3ELin1ELin1ELin1ELi1ELi1ELi1EEEvN5torch10headeronly6detail27GenericPackedTensorAccessorINS5_14TensorAccessorIN3c108ArrayRefIlEEKT_Lm4ENS4_16DefaultPtrTraitsEiEENS_6detail16IndexBoundsCheckILm5EiEESC_Lm5ESD_iEENS6_INS7_ISA_SB_Lm4ESD_iEESH_SB_Lm5ESD_iEESI_iiiiiiiii,"axG",@progbits,_ZN2at6native12_GLOBAL__N_143conv_depthwise3d_cuda_backward_input_kernelIddLi3ELi3ELi3ELin1ELin1ELin1ELi1ELi1ELi1EEEvN5torch10headeronly6detail27GenericPackedTensorAccessorINS5_14TensorAccessorIN3c108ArrayRefIlEEKT_Lm4ENS4_16DefaultPtrTraitsEiEENS_6detail16IndexBoundsCheckILm5EiEESC_Lm5ESD_iEENS6_INS7_ISA_SB_Lm4ESD_iEESH_SB_Lm5ESD_iEESI_iiiiiiiii,comdat
	.globl	_ZN2at6native12_GLOBAL__N_143conv_depthwise3d_cuda_backward_input_kernelIddLi3ELi3ELi3ELin1ELin1ELin1ELi1ELi1ELi1EEEvN5torch10headeronly6detail27GenericPackedTensorAccessorINS5_14TensorAccessorIN3c108ArrayRefIlEEKT_Lm4ENS4_16DefaultPtrTraitsEiEENS_6detail16IndexBoundsCheckILm5EiEESC_Lm5ESD_iEENS6_INS7_ISA_SB_Lm4ESD_iEESH_SB_Lm5ESD_iEESI_iiiiiiiii ; -- Begin function _ZN2at6native12_GLOBAL__N_143conv_depthwise3d_cuda_backward_input_kernelIddLi3ELi3ELi3ELin1ELin1ELin1ELi1ELi1ELi1EEEvN5torch10headeronly6detail27GenericPackedTensorAccessorINS5_14TensorAccessorIN3c108ArrayRefIlEEKT_Lm4ENS4_16DefaultPtrTraitsEiEENS_6detail16IndexBoundsCheckILm5EiEESC_Lm5ESD_iEENS6_INS7_ISA_SB_Lm4ESD_iEESH_SB_Lm5ESD_iEESI_iiiiiiiii
	.p2align	8
	.type	_ZN2at6native12_GLOBAL__N_143conv_depthwise3d_cuda_backward_input_kernelIddLi3ELi3ELi3ELin1ELin1ELin1ELi1ELi1ELi1EEEvN5torch10headeronly6detail27GenericPackedTensorAccessorINS5_14TensorAccessorIN3c108ArrayRefIlEEKT_Lm4ENS4_16DefaultPtrTraitsEiEENS_6detail16IndexBoundsCheckILm5EiEESC_Lm5ESD_iEENS6_INS7_ISA_SB_Lm4ESD_iEESH_SB_Lm5ESD_iEESI_iiiiiiiii,@function
_ZN2at6native12_GLOBAL__N_143conv_depthwise3d_cuda_backward_input_kernelIddLi3ELi3ELi3ELin1ELin1ELin1ELi1ELi1ELi1EEEvN5torch10headeronly6detail27GenericPackedTensorAccessorINS5_14TensorAccessorIN3c108ArrayRefIlEEKT_Lm4ENS4_16DefaultPtrTraitsEiEENS_6detail16IndexBoundsCheckILm5EiEESC_Lm5ESD_iEENS6_INS7_ISA_SB_Lm4ESD_iEESH_SB_Lm5ESD_iEESI_iiiiiiiii: ; @_ZN2at6native12_GLOBAL__N_143conv_depthwise3d_cuda_backward_input_kernelIddLi3ELi3ELi3ELin1ELin1ELin1ELi1ELi1ELi1EEEvN5torch10headeronly6detail27GenericPackedTensorAccessorINS5_14TensorAccessorIN3c108ArrayRefIlEEKT_Lm4ENS4_16DefaultPtrTraitsEiEENS_6detail16IndexBoundsCheckILm5EiEESC_Lm5ESD_iEENS6_INS7_ISA_SB_Lm4ESD_iEESH_SB_Lm5ESD_iEESI_iiiiiiiii
; %bb.0:
	s_clause 0x2
	s_load_b128 s[8:11], s[0:1], 0x38
	s_load_b32 s4, s[0:1], 0xc4
	s_load_b64 s[24:25], s[0:1], 0x48
	s_mov_b32 s6, exec_lo
	s_waitcnt lgkmcnt(0)
	s_abs_i32 s7, s9
	s_add_u32 s2, s0, 0xb8
	v_cvt_f32_u32_e32 v1, s7
	s_addc_u32 s3, s1, 0
	s_and_b32 s4, s4, 0xffff
	s_mul_i32 s26, s25, s8
	s_delay_alu instid0(SALU_CYCLE_1) | instskip(SKIP_3) | instid1(VALU_DEP_1)
	s_ashr_i32 s27, s26, 31
	v_rcp_iflag_f32_e32 v2, v1
	s_waitcnt_depctr 0xfff
	v_dual_mov_b32 v1, 0 :: v_dual_mul_f32 v4, 0x4f7ffffe, v2
	v_mad_u64_u32 v[2:3], null, s4, s15, v[0:1]
	s_delay_alu instid0(VALU_DEP_2) | instskip(NEXT) | instid1(VALU_DEP_1)
	v_cvt_u32_f32_e32 v0, v4
	v_readfirstlane_b32 s5, v0
	s_delay_alu instid0(VALU_DEP_3)
	v_cmpx_gt_i64_e64 s[26:27], v[2:3]
	s_cbranch_execz .LBB14_60
; %bb.1:
	s_clause 0x1
	s_load_b128 s[12:15], s[0:1], 0xc
	s_load_b64 s[28:29], s[0:1], 0x0
	s_sub_i32 s6, 0, s7
	s_mov_b32 s41, 0
	s_mul_i32 s8, s6, s5
	v_mul_lo_u32 v6, s6, v0
	s_mul_hi_u32 s8, s5, s8
	s_delay_alu instid0(SALU_CYCLE_1) | instskip(SKIP_1) | instid1(VALU_DEP_1)
	s_add_i32 s5, s5, s8
	s_ashr_i32 s8, s9, 31
	v_mul_hi_u32 v6, v0, v6
	s_waitcnt lgkmcnt(0)
	s_abs_i32 s16, s12
	s_ashr_i32 s12, s12, 31
	s_mul_hi_u32 s5, s16, s5
	s_xor_b32 s48, s12, s8
	s_mul_i32 s17, s5, s7
	s_delay_alu instid0(VALU_DEP_1)
	v_add_nc_u32_e32 v175, v0, v6
	s_sub_i32 s12, s16, s17
	s_add_i32 s16, s5, 1
	s_sub_i32 s17, s12, s7
	s_cmp_ge_u32 s12, s7
	s_cselect_b32 s5, s16, s5
	s_cselect_b32 s12, s17, s12
	s_add_i32 s16, s5, 1
	s_cmp_ge_u32 s12, s7
	s_cselect_b32 s5, s16, s5
	s_abs_i32 s12, s24
	s_abs_i32 s33, s11
	v_cvt_f32_u32_e32 v1, s12
	v_cvt_f32_u32_e32 v4, s33
	s_abs_i32 s40, s10
	s_load_b64 s[30:31], s[0:1], 0xac
	s_load_b32 s2, s[2:3], 0x0
	s_clause 0x3
	s_load_b128 s[16:19], s[0:1], 0x9c
	s_load_b32 s42, s[0:1], 0x7c
	s_load_b64 s[34:35], s[0:1], 0x1c
	s_load_b64 s[36:37], s[0:1], 0x30
	v_cvt_f32_u32_e32 v5, s40
	v_rcp_iflag_f32_e32 v1, v1
	v_rcp_iflag_f32_e32 v4, v4
	s_sub_i32 s3, 0, s12
	s_sub_i32 s6, 0, s33
	v_rcp_iflag_f32_e32 v5, v5
	s_sub_i32 s20, 0, s40
	s_ashr_i32 s47, s24, 31
	s_ashr_i32 s49, s11, 31
	;; [unrolled: 1-line block ×3, first 2 shown]
	s_waitcnt_depctr 0xfff
	v_dual_mul_f32 v1, 0x4f7ffffe, v1 :: v_dual_mul_f32 v4, 0x4f7ffffe, v4
	s_waitcnt lgkmcnt(0)
	s_lshl_b32 s44, s31, 1
	s_mul_i32 s43, s2, s4
	s_delay_alu instid0(VALU_DEP_1) | instskip(SKIP_3) | instid1(VALU_DEP_2)
	v_cvt_u32_f32_e32 v1, v1
	v_cvt_u32_f32_e32 v4, v4
	s_lshl_b32 s45, s30, 1
	s_lshl_b32 s46, s19, 1
	v_mul_lo_u32 v7, s3, v1
	s_delay_alu instid0(VALU_DEP_2) | instskip(NEXT) | instid1(VALU_DEP_2)
	v_mul_lo_u32 v8, s6, v4
	v_mul_hi_u32 v7, v1, v7
	v_mul_f32_e32 v5, 0x4f7ffffe, v5
	s_delay_alu instid0(VALU_DEP_3) | instskip(NEXT) | instid1(VALU_DEP_3)
	v_mul_hi_u32 v8, v4, v8
	v_add_nc_u32_e32 v172, v1, v7
	s_delay_alu instid0(VALU_DEP_3) | instskip(NEXT) | instid1(VALU_DEP_3)
	v_cvt_u32_f32_e32 v5, v5
	v_add_nc_u32_e32 v173, v4, v8
	s_delay_alu instid0(VALU_DEP_2) | instskip(SKIP_4) | instid1(SALU_CYCLE_1)
	v_mul_lo_u32 v9, s20, v5
	s_clause 0x1
	s_load_b64 s[38:39], s[0:1], 0x60
	s_load_b128 s[20:23], s[0:1], 0x50
	s_xor_b32 s0, s5, s48
	s_sub_i32 s48, s0, s48
	s_delay_alu instid0(SALU_CYCLE_1) | instskip(NEXT) | instid1(VALU_DEP_1)
	s_mul_i32 s51, s35, s48
	v_mul_hi_u32 v9, v5, v9
	s_delay_alu instid0(VALU_DEP_1)
	v_add_nc_u32_e32 v174, v5, v9
	s_branch .LBB14_3
.LBB14_2:                               ;   in Loop: Header=BB14_3 Depth=1
	s_or_b32 exec_lo, exec_lo, s52
	v_mul_lo_u32 v0, v180, s25
	s_waitcnt lgkmcnt(0)
	v_mul_lo_u32 v6, s20, v178
	v_mul_lo_u32 v8, s21, v179
	;; [unrolled: 1-line block ×3, first 2 shown]
	v_add_co_u32 v2, vcc_lo, v2, s43
	v_add_co_ci_u32_e32 v3, vcc_lo, 0, v3, vcc_lo
	v_ashrrev_i32_e32 v1, 31, v0
	v_ashrrev_i32_e32 v7, 31, v6
	;; [unrolled: 1-line block ×3, first 2 shown]
	v_mul_lo_u32 v12, s23, v176
	v_ashrrev_i32_e32 v11, 31, v10
	v_lshlrev_b64 v[0:1], 3, v[0:1]
	v_lshlrev_b64 v[6:7], 3, v[6:7]
	s_delay_alu instid0(VALU_DEP_4) | instskip(NEXT) | instid1(VALU_DEP_3)
	v_ashrrev_i32_e32 v13, 31, v12
	v_add_co_u32 v14, vcc_lo, s36, v0
	s_delay_alu instid0(VALU_DEP_4) | instskip(SKIP_1) | instid1(VALU_DEP_3)
	v_add_co_ci_u32_e32 v15, vcc_lo, s37, v1, vcc_lo
	v_lshlrev_b64 v[0:1], 3, v[8:9]
	v_add_co_u32 v8, vcc_lo, v14, v6
	s_delay_alu instid0(VALU_DEP_3) | instskip(SKIP_1) | instid1(VALU_DEP_3)
	v_add_co_ci_u32_e32 v9, vcc_lo, v15, v7, vcc_lo
	v_lshlrev_b64 v[6:7], 3, v[10:11]
	v_add_co_u32 v8, vcc_lo, v8, v0
	s_delay_alu instid0(VALU_DEP_3) | instskip(SKIP_1) | instid1(VALU_DEP_3)
	;; [unrolled: 4-line block ×3, first 2 shown]
	v_add_co_ci_u32_e32 v7, vcc_lo, v9, v7, vcc_lo
	v_cmp_le_i64_e32 vcc_lo, s[26:27], v[2:3]
	v_add_co_u32 v0, s0, v6, v0
	s_delay_alu instid0(VALU_DEP_1)
	v_add_co_ci_u32_e64 v1, s0, v7, v1, s0
	s_or_b32 s41, vcc_lo, s41
	global_store_b64 v[0:1], v[4:5], off
	s_and_not1_b32 exec_lo, exec_lo, s41
	s_cbranch_execz .LBB14_60
.LBB14_3:                               ; =>This Loop Header: Depth=1
                                        ;     Child Loop BB14_6 Depth 2
	v_sub_nc_u32_e32 v0, 0, v2
	s_mov_b32 s52, exec_lo
	s_delay_alu instid0(VALU_DEP_1) | instskip(NEXT) | instid1(VALU_DEP_1)
	v_max_i32_e32 v0, v2, v0
	v_mul_hi_u32 v1, v0, v172
	s_delay_alu instid0(VALU_DEP_1) | instskip(NEXT) | instid1(VALU_DEP_1)
	v_mul_lo_u32 v4, v1, s12
	v_sub_nc_u32_e32 v0, v0, v4
	v_add_nc_u32_e32 v4, 1, v1
	s_delay_alu instid0(VALU_DEP_2) | instskip(SKIP_1) | instid1(VALU_DEP_2)
	v_subrev_nc_u32_e32 v5, s12, v0
	v_cmp_le_u32_e32 vcc_lo, s12, v0
	v_dual_cndmask_b32 v1, v1, v4 :: v_dual_cndmask_b32 v0, v0, v5
	v_ashrrev_i32_e32 v4, 31, v2
	s_delay_alu instid0(VALU_DEP_2) | instskip(NEXT) | instid1(VALU_DEP_3)
	v_add_nc_u32_e32 v5, 1, v1
	v_cmp_le_u32_e32 vcc_lo, s12, v0
	s_delay_alu instid0(VALU_DEP_3) | instskip(NEXT) | instid1(VALU_DEP_3)
	v_xor_b32_e32 v4, s47, v4
	v_cndmask_b32_e32 v0, v1, v5, vcc_lo
	s_delay_alu instid0(VALU_DEP_1) | instskip(NEXT) | instid1(VALU_DEP_1)
	v_xor_b32_e32 v0, v0, v4
	v_sub_nc_u32_e32 v1, v0, v4
	s_delay_alu instid0(VALU_DEP_1) | instskip(NEXT) | instid1(VALU_DEP_1)
	v_sub_nc_u32_e32 v0, 0, v1
	v_max_i32_e32 v0, v1, v0
	s_delay_alu instid0(VALU_DEP_1) | instskip(NEXT) | instid1(VALU_DEP_1)
	v_mul_hi_u32 v4, v0, v173
	v_mul_lo_u32 v5, v4, s33
	s_delay_alu instid0(VALU_DEP_1) | instskip(SKIP_1) | instid1(VALU_DEP_2)
	v_sub_nc_u32_e32 v0, v0, v5
	v_add_nc_u32_e32 v5, 1, v4
	v_subrev_nc_u32_e32 v6, s33, v0
	v_cmp_le_u32_e32 vcc_lo, s33, v0
	s_delay_alu instid0(VALU_DEP_3) | instskip(NEXT) | instid1(VALU_DEP_3)
	v_cndmask_b32_e32 v4, v4, v5, vcc_lo
	v_cndmask_b32_e32 v0, v0, v6, vcc_lo
	v_ashrrev_i32_e32 v5, 31, v1
	s_delay_alu instid0(VALU_DEP_3) | instskip(NEXT) | instid1(VALU_DEP_3)
	v_add_nc_u32_e32 v6, 1, v4
	v_cmp_le_u32_e32 vcc_lo, s33, v0
	s_delay_alu instid0(VALU_DEP_3) | instskip(NEXT) | instid1(VALU_DEP_3)
	v_xor_b32_e32 v5, s49, v5
	v_cndmask_b32_e32 v0, v4, v6, vcc_lo
	s_delay_alu instid0(VALU_DEP_1) | instskip(NEXT) | instid1(VALU_DEP_1)
	v_xor_b32_e32 v0, v0, v5
	v_sub_nc_u32_e32 v4, v0, v5
	s_delay_alu instid0(VALU_DEP_1) | instskip(NEXT) | instid1(VALU_DEP_1)
	v_sub_nc_u32_e32 v0, 0, v4
	v_max_i32_e32 v0, v4, v0
	s_delay_alu instid0(VALU_DEP_1) | instskip(NEXT) | instid1(VALU_DEP_1)
	v_mul_hi_u32 v5, v0, v174
	v_mul_lo_u32 v6, v5, s40
	s_delay_alu instid0(VALU_DEP_1) | instskip(SKIP_1) | instid1(VALU_DEP_2)
	v_sub_nc_u32_e32 v0, v0, v6
	v_add_nc_u32_e32 v6, 1, v5
	v_subrev_nc_u32_e32 v7, s40, v0
	v_cmp_le_u32_e32 vcc_lo, s40, v0
	s_delay_alu instid0(VALU_DEP_2) | instskip(SKIP_1) | instid1(VALU_DEP_2)
	v_dual_cndmask_b32 v5, v5, v6 :: v_dual_cndmask_b32 v0, v0, v7
	v_ashrrev_i32_e32 v6, 31, v4
	v_add_nc_u32_e32 v7, 1, v5
	s_delay_alu instid0(VALU_DEP_3) | instskip(NEXT) | instid1(VALU_DEP_3)
	v_cmp_le_u32_e32 vcc_lo, s40, v0
	v_xor_b32_e32 v6, s50, v6
	s_delay_alu instid0(VALU_DEP_3) | instskip(NEXT) | instid1(VALU_DEP_1)
	v_cndmask_b32_e32 v0, v5, v7, vcc_lo
	v_xor_b32_e32 v0, v0, v6
	s_delay_alu instid0(VALU_DEP_1) | instskip(NEXT) | instid1(VALU_DEP_1)
	v_sub_nc_u32_e32 v5, v0, v6
	v_sub_nc_u32_e32 v0, 0, v5
	s_delay_alu instid0(VALU_DEP_1) | instskip(NEXT) | instid1(VALU_DEP_1)
	v_max_i32_e32 v0, v5, v0
	v_mul_hi_u32 v6, v0, v175
	s_delay_alu instid0(VALU_DEP_1) | instskip(NEXT) | instid1(VALU_DEP_1)
	v_mul_lo_u32 v7, v6, s7
	v_sub_nc_u32_e32 v0, v0, v7
	v_add_nc_u32_e32 v7, 1, v6
	s_delay_alu instid0(VALU_DEP_2) | instskip(SKIP_1) | instid1(VALU_DEP_3)
	v_subrev_nc_u32_e32 v8, s7, v0
	v_cmp_le_u32_e32 vcc_lo, s7, v0
	v_cndmask_b32_e32 v6, v6, v7, vcc_lo
	s_delay_alu instid0(VALU_DEP_3) | instskip(SKIP_1) | instid1(VALU_DEP_3)
	v_cndmask_b32_e32 v0, v0, v8, vcc_lo
	v_ashrrev_i32_e32 v7, 31, v5
	v_add_nc_u32_e32 v8, 1, v6
	s_delay_alu instid0(VALU_DEP_3) | instskip(NEXT) | instid1(VALU_DEP_3)
	v_cmp_le_u32_e32 vcc_lo, s7, v0
	v_xor_b32_e32 v7, s8, v7
	s_delay_alu instid0(VALU_DEP_3) | instskip(SKIP_1) | instid1(VALU_DEP_2)
	v_cndmask_b32_e32 v0, v6, v8, vcc_lo
	v_mul_lo_u32 v6, v1, s24
	v_xor_b32_e32 v0, v0, v7
	s_delay_alu instid0(VALU_DEP_2) | instskip(NEXT) | instid1(VALU_DEP_2)
	v_sub_nc_u32_e32 v176, v2, v6
	v_sub_nc_u32_e32 v180, v0, v7
	v_mul_lo_u32 v7, v4, s11
	s_delay_alu instid0(VALU_DEP_2) | instskip(NEXT) | instid1(VALU_DEP_2)
	v_mul_lo_u32 v0, v180, s9
	v_sub_nc_u32_e32 v177, v1, v7
	s_delay_alu instid0(VALU_DEP_2) | instskip(SKIP_1) | instid1(VALU_DEP_2)
	v_sub_nc_u32_e32 v178, v5, v0
	v_mul_lo_u32 v5, v5, s10
	v_mul_lo_u32 v0, v178, s48
	s_delay_alu instid0(VALU_DEP_2) | instskip(SKIP_1) | instid1(VALU_DEP_3)
	v_sub_nc_u32_e32 v179, v4, v5
	v_mov_b32_e32 v4, 0
	v_dual_mov_b32 v5, 0 :: v_dual_add_nc_u32 v8, s48, v0
	s_delay_alu instid0(VALU_DEP_1)
	v_cmpx_lt_i32_e64 v0, v8
	s_cbranch_execz .LBB14_2
; %bb.4:                                ;   in Loop: Header=BB14_3 Depth=1
	v_mul_lo_u32 v0, s42, v0
	v_add_nc_u32_e32 v9, s16, v179
	v_mul_lo_u32 v4, s34, v180
	v_add_nc_u32_e32 v10, s17, v177
	v_add_nc_u32_e32 v6, s18, v176
	s_delay_alu instid0(VALU_DEP_4) | instskip(SKIP_2) | instid1(VALU_DEP_4)
	v_mul_lo_u32 v11, v9, s14
	v_cmp_gt_i32_e64 s5, s13, v9
	v_ashrrev_i32_e32 v1, 31, v0
	v_or_b32_e32 v12, v6, v10
	v_ashrrev_i32_e32 v5, 31, v4
	v_cmp_gt_i32_e64 s4, s14, v10
	v_subrev_nc_u32_e32 v61, s44, v6
	v_lshlrev_b64 v[0:1], 3, v[0:1]
	v_add_nc_u32_e32 v7, v10, v11
	v_lshlrev_b64 v[4:5], 3, v[4:5]
	v_subrev_nc_u32_e32 v47, s30, v10
	v_subrev_nc_u32_e32 v8, s45, v10
	;; [unrolled: 1-line block ×3, first 2 shown]
	s_waitcnt lgkmcnt(0)
	v_add_co_u32 v0, vcc_lo, s38, v0
	v_mul_lo_u32 v14, v7, s15
	v_subrev_nc_u32_e32 v7, s31, v6
	v_add_co_ci_u32_e32 v1, vcc_lo, s39, v1, vcc_lo
	v_add_co_u32 v181, vcc_lo, s28, v4
	v_or_b32_e32 v4, v12, v9
	s_delay_alu instid0(VALU_DEP_4) | instskip(SKIP_2) | instid1(VALU_DEP_4)
	v_or_b32_e32 v13, v7, v10
	v_add_co_ci_u32_e32 v182, vcc_lo, s29, v5, vcc_lo
	v_cmp_gt_i32_e32 vcc_lo, s15, v6
	v_cmp_lt_i32_e64 s0, -1, v4
	s_delay_alu instid0(VALU_DEP_4)
	v_or_b32_e32 v15, v13, v9
	v_or_b32_e32 v17, v6, v47
	;; [unrolled: 1-line block ×4, first 2 shown]
	s_and_b32 s0, vcc_lo, s0
	v_cmp_lt_i32_e64 s1, -1, v15
	s_and_b32 s0, s0, s4
	v_or_b32_e32 v15, v61, v10
	s_and_b32 s53, s0, s5
	v_cmp_gt_i32_e64 s0, s15, v7
	v_or_b32_e32 v18, v19, v9
	v_or_b32_e32 v22, v20, v9
	;; [unrolled: 1-line block ×4, first 2 shown]
	s_and_b32 s1, s0, s1
	v_or_b32_e32 v25, v7, v8
	s_and_b32 s1, s1, s4
	v_cmp_lt_i32_e64 s2, -1, v16
	s_and_b32 s54, s1, s5
	v_cmp_gt_i32_e64 s1, s15, v61
	v_or_b32_e32 v16, v17, v9
	v_or_b32_e32 v24, v25, v9
	;; [unrolled: 1-line block ×3, first 2 shown]
	v_subrev_nc_u32_e32 v27, s19, v9
	s_and_b32 s2, s1, s2
	v_cmp_lt_i32_e64 s3, -1, v16
	s_and_b32 s2, s2, s4
	s_and_b32 s71, vcc_lo, s4
	s_and_b32 s55, s2, s5
	v_cmp_gt_i32_e64 s2, s14, v47
	s_and_b32 s3, vcc_lo, s3
	v_or_b32_e32 v26, v12, v27
	v_or_b32_e32 v29, v13, v27
	;; [unrolled: 1-line block ×3, first 2 shown]
	s_and_b32 s6, s3, s2
	v_cmp_lt_i32_e64 s3, -1, v18
	s_and_b32 s56, s6, s5
	v_or_b32_e32 v31, v17, v27
	s_and_b32 s72, s0, s4
	v_or_b32_e32 v33, v19, v27
	s_and_b32 s3, s0, s3
	s_and_b32 s73, s1, s4
	;; [unrolled: 1-line block ×3, first 2 shown]
	v_cmp_lt_i32_e64 s4, -1, v31
	s_and_b32 s57, s3, s5
	v_cmp_lt_i32_e64 s3, -1, v22
	v_or_b32_e32 v22, v23, v9
	v_or_b32_e32 v9, v28, v9
	;; [unrolled: 1-line block ×4, first 2 shown]
	s_and_b32 s3, s1, s3
	v_cmp_lt_i32_e64 s6, -1, v22
	s_and_b32 s3, s3, s2
	v_or_b32_e32 v39, v25, v27
	s_and_b32 s58, s3, s5
	v_cmp_gt_i32_e64 s3, s14, v8
	s_and_b32 s6, vcc_lo, s6
	v_or_b32_e32 v49, v15, v45
	v_add_nc_u32_e32 v15, v47, v11
	v_add_nc_u32_e32 v11, v8, v11
	s_and_b32 s59, s6, s3
	v_cmp_lt_i32_e64 s6, -1, v24
	s_and_b32 s59, s59, s5
	v_mul_lo_u32 v36, v27, s14
	v_or_b32_e32 v42, v28, v27
	v_mul_lo_u32 v11, v11, s15
	s_and_b32 s6, s0, s6
	v_or_b32_e32 v46, v12, v45
	s_and_b32 s6, s6, s3
	v_or_b32_e32 v48, v13, v45
	s_and_b32 s60, s6, s5
	v_cmp_lt_i32_e64 s6, -1, v9
	v_add_nc_u32_e32 v9, v10, v36
	v_add_nc_u32_e32 v22, v6, v11
	;; [unrolled: 1-line block ×3, first 2 shown]
	v_or_b32_e32 v50, v17, v45
	s_and_b32 s6, s1, s6
	v_mul_lo_u32 v9, v9, s15
	s_and_b32 s61, s6, s3
	v_cmp_lt_i32_e64 s6, -1, v26
	s_and_b32 s61, s61, s5
	v_cmp_gt_i32_e64 s5, s13, v27
	v_add_nc_u32_e32 v26, v61, v11
	v_add_nc_u32_e32 v11, v47, v36
	s_and_b32 s62, s71, s6
	v_cmp_lt_i32_e64 s6, -1, v29
	s_and_b32 s62, s62, s5
	v_or_b32_e32 v60, v28, v45
	v_mul_lo_u32 v11, v11, s15
	v_add_nc_u32_e32 v28, v6, v9
	s_and_b32 s63, s72, s6
	v_cmp_lt_i32_e64 s6, -1, v30
	s_and_b32 s63, s63, s5
	v_add_nc_u32_e32 v30, v7, v9
	v_add_nc_u32_e32 v32, v61, v9
	;; [unrolled: 1-line block ×3, first 2 shown]
	s_and_b32 s6, s73, s6
	v_or_b32_e32 v51, v19, v45
	s_and_b32 s64, s6, s5
	s_and_b32 s6, vcc_lo, s4
	v_cmp_lt_i32_e64 s4, -1, v33
	s_and_b32 s6, s6, s2
	v_add_nc_u32_e32 v34, v6, v11
	s_and_b32 s65, s6, s5
	v_add_nc_u32_e32 v36, v7, v11
	s_and_b32 s6, s0, s4
	v_cmp_lt_i32_e64 s4, -1, v35
	s_and_b32 s6, s6, s2
	v_mul_lo_u32 v9, v9, s15
	s_and_b32 s66, s6, s5
	v_add_nc_u32_e32 v38, v61, v11
	s_and_b32 s67, s1, s4
	v_cmp_lt_i32_e64 s4, -1, v37
	s_and_b32 s6, s67, s2
	v_mul_lo_u32 v11, v45, s14
	s_and_b32 s67, s6, s5
	v_or_b32_e32 v53, v20, v45
	s_and_b32 s4, vcc_lo, s4
	v_or_b32_e32 v55, v23, v45
	s_and_b32 s6, s4, s3
	v_cmp_lt_i32_e64 s4, -1, v39
	s_and_b32 s68, s6, s5
	v_add_nc_u32_e32 v40, v6, v9
	v_add_nc_u32_e32 v44, v61, v9
	;; [unrolled: 1-line block ×3, first 2 shown]
	s_and_b32 s6, s0, s4
	v_cmp_lt_i32_e64 s4, -1, v42
	s_and_b32 s6, s6, s3
	v_add_nc_u32_e32 v42, v7, v9
	s_and_b32 s69, s6, s5
	v_add_nc_u32_e32 v9, v47, v11
	s_and_b32 s4, s1, s4
	v_mul_lo_u32 v8, v8, s15
	s_and_b32 s6, s4, s3
	v_cmp_lt_i32_e64 s4, -1, v46
	s_and_b32 s70, s6, s5
	v_cmp_gt_i32_e64 s5, s13, v45
	v_cmp_lt_i32_e64 s6, -1, v48
	v_mul_lo_u32 v9, v9, s15
	s_and_b32 s4, s71, s4
	v_add_nc_u32_e32 v58, v6, v8
	s_and_b32 s71, s4, s5
	v_cmp_lt_i32_e64 s4, -1, v49
	s_and_b32 s6, s72, s6
	v_add_nc_u32_e32 v62, v61, v8
	s_and_b32 s72, s6, s5
	v_add_nc_u32_e32 v52, v6, v9
	s_and_b32 s6, s73, s4
	v_cmp_lt_i32_e64 s4, -1, v50
	s_and_b32 s73, s6, s5
	v_cmp_lt_i32_e64 s6, -1, v51
	v_add_nc_u32_e32 v54, v7, v9
	v_add_nc_u32_e32 v56, v61, v9
	s_and_b32 s4, vcc_lo, s4
	v_add_nc_u32_e32 v4, v6, v14
	s_and_b32 s4, s4, s2
	s_and_b32 s74, s0, s6
	;; [unrolled: 1-line block ×3, first 2 shown]
	v_cmp_lt_i32_e64 s4, -1, v53
	s_and_b32 s74, s74, s2
	v_ashrrev_i32_e32 v5, 31, v4
	v_add_nc_u32_e32 v12, v7, v14
	v_add_nc_u32_e32 v14, v61, v14
	s_and_b32 s75, s1, s4
	v_cmp_lt_i32_e64 s4, -1, v55
	s_and_b32 s2, s75, s2
	v_or_b32_e32 v59, v25, v45
	s_and_b32 s75, s2, s5
	v_ashrrev_i32_e32 v13, 31, v12
	s_and_b32 s2, vcc_lo, s4
	v_ashrrev_i32_e32 v23, 31, v22
	s_and_b32 s2, s2, s3
	v_ashrrev_i32_e32 v25, 31, v24
	s_and_b32 s4, s2, s5
	v_cmp_lt_i32_e64 s2, -1, v60
	v_add_nc_u32_e32 v60, v7, v8
	v_mov_b32_e32 v8, 0
	v_dual_mov_b32 v9, 0 :: v_dual_add_nc_u32 v10, v10, v11
	v_ashrrev_i32_e32 v27, 31, v26
	v_ashrrev_i32_e32 v29, 31, v28
	;; [unrolled: 1-line block ×4, first 2 shown]
	v_mul_lo_u32 v10, v10, s15
	v_ashrrev_i32_e32 v35, 31, v34
	v_ashrrev_i32_e32 v37, 31, v36
	;; [unrolled: 1-line block ×7, first 2 shown]
	v_add_nc_u32_e32 v46, v6, v10
	v_add_nc_u32_e32 v48, v7, v10
	;; [unrolled: 1-line block ×3, first 2 shown]
	v_lshlrev_b64 v[10:11], 3, v[4:5]
	v_mov_b32_e32 v4, v8
	v_mul_lo_u32 v21, v15, s15
	v_mov_b32_e32 v5, v9
	v_ashrrev_i32_e32 v15, 31, v14
	v_ashrrev_i32_e32 v47, 31, v46
	;; [unrolled: 1-line block ×6, first 2 shown]
	v_add_nc_u32_e32 v16, v6, v21
	v_add_nc_u32_e32 v18, v7, v21
	;; [unrolled: 1-line block ×3, first 2 shown]
	v_cmp_lt_i32_e32 vcc_lo, -1, v59
	v_ashrrev_i32_e32 v59, 31, v58
	v_ashrrev_i32_e32 v17, 31, v16
	;; [unrolled: 1-line block ×6, first 2 shown]
	v_mul_lo_u32 v6, s51, v178
	s_and_b32 s0, s0, vcc_lo
	s_and_b32 s1, s1, s2
	v_lshlrev_b64 v[12:13], 3, v[12:13]
	v_lshlrev_b64 v[14:15], 3, v[14:15]
	;; [unrolled: 1-line block ×26, first 2 shown]
	s_and_b32 s0, s0, s3
	s_and_b32 s1, s1, s3
	;; [unrolled: 1-line block ×5, first 2 shown]
	s_mov_b32 s2, s48
	s_branch .LBB14_6
.LBB14_5:                               ;   in Loop: Header=BB14_6 Depth=2
	s_or_b32 exec_lo, exec_lo, s3
	s_waitcnt vmcnt(26)
	v_fma_f64 v[4:5], v[64:65], v[66:67], v[4:5]
	v_add_co_u32 v0, vcc_lo, 0xd8, v0
	v_add_co_ci_u32_e32 v1, vcc_lo, 0, v1, vcc_lo
	v_add_nc_u32_e32 v6, s35, v6
	s_add_i32 s2, s2, -1
	s_delay_alu instid0(SALU_CYCLE_1) | instskip(SKIP_1) | instid1(VALU_DEP_4)
	s_cmp_eq_u32 s2, 0
	s_waitcnt vmcnt(25)
	v_fma_f64 v[4:5], v[68:69], v[72:73], v[4:5]
	s_waitcnt vmcnt(24)
	s_delay_alu instid0(VALU_DEP_1) | instskip(SKIP_1) | instid1(VALU_DEP_1)
	v_fma_f64 v[4:5], v[74:75], v[70:71], v[4:5]
	s_waitcnt vmcnt(23)
	v_fma_f64 v[4:5], v[76:77], v[80:81], v[4:5]
	s_waitcnt vmcnt(22)
	s_delay_alu instid0(VALU_DEP_1) | instskip(SKIP_1) | instid1(VALU_DEP_1)
	v_fma_f64 v[4:5], v[82:83], v[78:79], v[4:5]
	s_waitcnt vmcnt(21)
	v_fma_f64 v[4:5], v[84:85], v[88:89], v[4:5]
	s_waitcnt vmcnt(20)
	s_delay_alu instid0(VALU_DEP_1) | instskip(SKIP_1) | instid1(VALU_DEP_1)
	v_fma_f64 v[4:5], v[90:91], v[86:87], v[4:5]
	s_waitcnt vmcnt(19)
	v_fma_f64 v[4:5], v[92:93], v[96:97], v[4:5]
	s_waitcnt vmcnt(18)
	s_delay_alu instid0(VALU_DEP_1) | instskip(SKIP_1) | instid1(VALU_DEP_1)
	v_fma_f64 v[4:5], v[98:99], v[94:95], v[4:5]
	s_waitcnt vmcnt(17)
	v_fma_f64 v[4:5], v[100:101], v[104:105], v[4:5]
	s_waitcnt vmcnt(16)
	s_delay_alu instid0(VALU_DEP_1) | instskip(SKIP_1) | instid1(VALU_DEP_1)
	v_fma_f64 v[4:5], v[106:107], v[102:103], v[4:5]
	s_waitcnt vmcnt(15)
	v_fma_f64 v[4:5], v[108:109], v[112:113], v[4:5]
	s_waitcnt vmcnt(14)
	s_delay_alu instid0(VALU_DEP_1) | instskip(SKIP_1) | instid1(VALU_DEP_1)
	v_fma_f64 v[4:5], v[114:115], v[110:111], v[4:5]
	s_waitcnt vmcnt(13)
	v_fma_f64 v[4:5], v[116:117], v[120:121], v[4:5]
	s_waitcnt vmcnt(12)
	s_delay_alu instid0(VALU_DEP_1) | instskip(SKIP_1) | instid1(VALU_DEP_1)
	v_fma_f64 v[4:5], v[122:123], v[118:119], v[4:5]
	s_waitcnt vmcnt(11)
	v_fma_f64 v[4:5], v[124:125], v[128:129], v[4:5]
	s_waitcnt vmcnt(10)
	s_delay_alu instid0(VALU_DEP_1) | instskip(SKIP_1) | instid1(VALU_DEP_1)
	v_fma_f64 v[4:5], v[130:131], v[126:127], v[4:5]
	s_waitcnt vmcnt(9)
	v_fma_f64 v[4:5], v[132:133], v[136:137], v[4:5]
	s_waitcnt vmcnt(8)
	s_delay_alu instid0(VALU_DEP_1) | instskip(SKIP_1) | instid1(VALU_DEP_1)
	v_fma_f64 v[4:5], v[138:139], v[134:135], v[4:5]
	s_waitcnt vmcnt(7)
	v_fma_f64 v[4:5], v[140:141], v[144:145], v[4:5]
	s_waitcnt vmcnt(6)
	s_delay_alu instid0(VALU_DEP_1) | instskip(SKIP_1) | instid1(VALU_DEP_1)
	v_fma_f64 v[4:5], v[146:147], v[142:143], v[4:5]
	s_waitcnt vmcnt(5)
	v_fma_f64 v[4:5], v[148:149], v[152:153], v[4:5]
	s_waitcnt vmcnt(4)
	s_delay_alu instid0(VALU_DEP_1) | instskip(SKIP_1) | instid1(VALU_DEP_1)
	v_fma_f64 v[4:5], v[154:155], v[150:151], v[4:5]
	s_waitcnt vmcnt(3)
	v_fma_f64 v[4:5], v[156:157], v[160:161], v[4:5]
	s_waitcnt vmcnt(2)
	s_delay_alu instid0(VALU_DEP_1) | instskip(SKIP_1) | instid1(VALU_DEP_1)
	v_fma_f64 v[4:5], v[162:163], v[158:159], v[4:5]
	s_waitcnt vmcnt(1)
	v_fma_f64 v[4:5], v[164:165], v[168:169], v[4:5]
	s_waitcnt vmcnt(0)
	s_delay_alu instid0(VALU_DEP_1)
	v_fma_f64 v[4:5], v[170:171], v[166:167], v[4:5]
	s_cbranch_scc1 .LBB14_2
.LBB14_6:                               ;   Parent Loop BB14_3 Depth=1
                                        ; =>  This Inner Loop Header: Depth=2
	global_load_b64 v[64:65], v[0:1], off
	v_ashrrev_i32_e32 v7, 31, v6
	s_delay_alu instid0(VALU_DEP_1) | instskip(NEXT) | instid1(VALU_DEP_1)
	v_lshlrev_b64 v[66:67], 3, v[6:7]
	v_add_co_u32 v7, vcc_lo, v181, v66
	s_delay_alu instid0(VALU_DEP_2)
	v_add_co_ci_u32_e32 v183, vcc_lo, v182, v67, vcc_lo
	v_dual_mov_b32 v67, v9 :: v_dual_mov_b32 v66, v8
	s_and_saveexec_b32 s3, s53
	s_cbranch_execz .LBB14_8
; %bb.7:                                ;   in Loop: Header=BB14_6 Depth=2
	v_add_co_u32 v66, vcc_lo, v7, v10
	v_add_co_ci_u32_e32 v67, vcc_lo, v183, v11, vcc_lo
	global_load_b64 v[66:67], v[66:67], off
.LBB14_8:                               ;   in Loop: Header=BB14_6 Depth=2
	s_or_b32 exec_lo, exec_lo, s3
	global_load_b64 v[68:69], v[0:1], off offset:8
	v_mov_b32_e32 v70, 0
	v_mov_b32_e32 v71, 0
	s_delay_alu instid0(VALU_DEP_1)
	v_dual_mov_b32 v73, v71 :: v_dual_mov_b32 v72, v70
	s_and_saveexec_b32 s3, s54
	s_cbranch_execz .LBB14_10
; %bb.9:                                ;   in Loop: Header=BB14_6 Depth=2
	v_add_co_u32 v72, vcc_lo, v7, v12
	v_add_co_ci_u32_e32 v73, vcc_lo, v183, v13, vcc_lo
	global_load_b64 v[72:73], v[72:73], off
.LBB14_10:                              ;   in Loop: Header=BB14_6 Depth=2
	s_or_b32 exec_lo, exec_lo, s3
	global_load_b64 v[74:75], v[0:1], off offset:16
	s_and_saveexec_b32 s3, s55
	s_cbranch_execz .LBB14_12
; %bb.11:                               ;   in Loop: Header=BB14_6 Depth=2
	v_add_co_u32 v70, vcc_lo, v7, v14
	v_add_co_ci_u32_e32 v71, vcc_lo, v183, v15, vcc_lo
	global_load_b64 v[70:71], v[70:71], off
.LBB14_12:                              ;   in Loop: Header=BB14_6 Depth=2
	s_or_b32 exec_lo, exec_lo, s3
	global_load_b64 v[76:77], v[0:1], off offset:24
	v_mov_b32_e32 v78, 0
	v_mov_b32_e32 v79, 0
	s_delay_alu instid0(VALU_DEP_1)
	v_dual_mov_b32 v81, v79 :: v_dual_mov_b32 v80, v78
	s_and_saveexec_b32 s3, s56
	s_cbranch_execz .LBB14_14
; %bb.13:                               ;   in Loop: Header=BB14_6 Depth=2
	v_add_co_u32 v80, vcc_lo, v7, v16
	v_add_co_ci_u32_e32 v81, vcc_lo, v183, v17, vcc_lo
	global_load_b64 v[80:81], v[80:81], off
.LBB14_14:                              ;   in Loop: Header=BB14_6 Depth=2
	s_or_b32 exec_lo, exec_lo, s3
	global_load_b64 v[82:83], v[0:1], off offset:32
	s_and_saveexec_b32 s3, s57
	s_cbranch_execz .LBB14_16
; %bb.15:                               ;   in Loop: Header=BB14_6 Depth=2
	v_add_co_u32 v78, vcc_lo, v7, v18
	v_add_co_ci_u32_e32 v79, vcc_lo, v183, v19, vcc_lo
	global_load_b64 v[78:79], v[78:79], off
.LBB14_16:                              ;   in Loop: Header=BB14_6 Depth=2
	s_or_b32 exec_lo, exec_lo, s3
	global_load_b64 v[84:85], v[0:1], off offset:40
	v_mov_b32_e32 v86, 0
	v_mov_b32_e32 v87, 0
	s_delay_alu instid0(VALU_DEP_1)
	v_dual_mov_b32 v89, v87 :: v_dual_mov_b32 v88, v86
	s_and_saveexec_b32 s3, s58
	s_cbranch_execz .LBB14_18
; %bb.17:                               ;   in Loop: Header=BB14_6 Depth=2
	v_add_co_u32 v88, vcc_lo, v7, v20
	v_add_co_ci_u32_e32 v89, vcc_lo, v183, v21, vcc_lo
	global_load_b64 v[88:89], v[88:89], off
.LBB14_18:                              ;   in Loop: Header=BB14_6 Depth=2
	;; [unrolled: 22-line block ×12, first 2 shown]
	s_or_b32 exec_lo, exec_lo, s3
	global_load_b64 v[170:171], v[0:1], off offset:208
	s_and_saveexec_b32 s3, s1
	s_cbranch_execz .LBB14_5
; %bb.59:                               ;   in Loop: Header=BB14_6 Depth=2
	v_add_co_u32 v166, vcc_lo, v7, v62
	v_add_co_ci_u32_e32 v167, vcc_lo, v183, v63, vcc_lo
	global_load_b64 v[166:167], v[166:167], off
	s_branch .LBB14_5
.LBB14_60:
	s_nop 0
	s_sendmsg sendmsg(MSG_DEALLOC_VGPRS)
	s_endpgm
	.section	.rodata,"a",@progbits
	.p2align	6, 0x0
	.amdhsa_kernel _ZN2at6native12_GLOBAL__N_143conv_depthwise3d_cuda_backward_input_kernelIddLi3ELi3ELi3ELin1ELin1ELin1ELi1ELi1ELi1EEEvN5torch10headeronly6detail27GenericPackedTensorAccessorINS5_14TensorAccessorIN3c108ArrayRefIlEEKT_Lm4ENS4_16DefaultPtrTraitsEiEENS_6detail16IndexBoundsCheckILm5EiEESC_Lm5ESD_iEENS6_INS7_ISA_SB_Lm4ESD_iEESH_SB_Lm5ESD_iEESI_iiiiiiiii
		.amdhsa_group_segment_fixed_size 0
		.amdhsa_private_segment_fixed_size 0
		.amdhsa_kernarg_size 440
		.amdhsa_user_sgpr_count 15
		.amdhsa_user_sgpr_dispatch_ptr 0
		.amdhsa_user_sgpr_queue_ptr 0
		.amdhsa_user_sgpr_kernarg_segment_ptr 1
		.amdhsa_user_sgpr_dispatch_id 0
		.amdhsa_user_sgpr_private_segment_size 0
		.amdhsa_wavefront_size32 1
		.amdhsa_uses_dynamic_stack 0
		.amdhsa_enable_private_segment 0
		.amdhsa_system_sgpr_workgroup_id_x 1
		.amdhsa_system_sgpr_workgroup_id_y 0
		.amdhsa_system_sgpr_workgroup_id_z 0
		.amdhsa_system_sgpr_workgroup_info 0
		.amdhsa_system_vgpr_workitem_id 0
		.amdhsa_next_free_vgpr 184
		.amdhsa_next_free_sgpr 76
		.amdhsa_reserve_vcc 1
		.amdhsa_float_round_mode_32 0
		.amdhsa_float_round_mode_16_64 0
		.amdhsa_float_denorm_mode_32 3
		.amdhsa_float_denorm_mode_16_64 3
		.amdhsa_dx10_clamp 1
		.amdhsa_ieee_mode 1
		.amdhsa_fp16_overflow 0
		.amdhsa_workgroup_processor_mode 1
		.amdhsa_memory_ordered 1
		.amdhsa_forward_progress 0
		.amdhsa_shared_vgpr_count 0
		.amdhsa_exception_fp_ieee_invalid_op 0
		.amdhsa_exception_fp_denorm_src 0
		.amdhsa_exception_fp_ieee_div_zero 0
		.amdhsa_exception_fp_ieee_overflow 0
		.amdhsa_exception_fp_ieee_underflow 0
		.amdhsa_exception_fp_ieee_inexact 0
		.amdhsa_exception_int_div_zero 0
	.end_amdhsa_kernel
	.section	.text._ZN2at6native12_GLOBAL__N_143conv_depthwise3d_cuda_backward_input_kernelIddLi3ELi3ELi3ELin1ELin1ELin1ELi1ELi1ELi1EEEvN5torch10headeronly6detail27GenericPackedTensorAccessorINS5_14TensorAccessorIN3c108ArrayRefIlEEKT_Lm4ENS4_16DefaultPtrTraitsEiEENS_6detail16IndexBoundsCheckILm5EiEESC_Lm5ESD_iEENS6_INS7_ISA_SB_Lm4ESD_iEESH_SB_Lm5ESD_iEESI_iiiiiiiii,"axG",@progbits,_ZN2at6native12_GLOBAL__N_143conv_depthwise3d_cuda_backward_input_kernelIddLi3ELi3ELi3ELin1ELin1ELin1ELi1ELi1ELi1EEEvN5torch10headeronly6detail27GenericPackedTensorAccessorINS5_14TensorAccessorIN3c108ArrayRefIlEEKT_Lm4ENS4_16DefaultPtrTraitsEiEENS_6detail16IndexBoundsCheckILm5EiEESC_Lm5ESD_iEENS6_INS7_ISA_SB_Lm4ESD_iEESH_SB_Lm5ESD_iEESI_iiiiiiiii,comdat
.Lfunc_end14:
	.size	_ZN2at6native12_GLOBAL__N_143conv_depthwise3d_cuda_backward_input_kernelIddLi3ELi3ELi3ELin1ELin1ELin1ELi1ELi1ELi1EEEvN5torch10headeronly6detail27GenericPackedTensorAccessorINS5_14TensorAccessorIN3c108ArrayRefIlEEKT_Lm4ENS4_16DefaultPtrTraitsEiEENS_6detail16IndexBoundsCheckILm5EiEESC_Lm5ESD_iEENS6_INS7_ISA_SB_Lm4ESD_iEESH_SB_Lm5ESD_iEESI_iiiiiiiii, .Lfunc_end14-_ZN2at6native12_GLOBAL__N_143conv_depthwise3d_cuda_backward_input_kernelIddLi3ELi3ELi3ELin1ELin1ELin1ELi1ELi1ELi1EEEvN5torch10headeronly6detail27GenericPackedTensorAccessorINS5_14TensorAccessorIN3c108ArrayRefIlEEKT_Lm4ENS4_16DefaultPtrTraitsEiEENS_6detail16IndexBoundsCheckILm5EiEESC_Lm5ESD_iEENS6_INS7_ISA_SB_Lm4ESD_iEESH_SB_Lm5ESD_iEESI_iiiiiiiii
                                        ; -- End function
	.section	.AMDGPU.csdata,"",@progbits
; Kernel info:
; codeLenInByte = 4556
; NumSgprs: 78
; NumVgprs: 184
; ScratchSize: 0
; MemoryBound: 0
; FloatMode: 240
; IeeeMode: 1
; LDSByteSize: 0 bytes/workgroup (compile time only)
; SGPRBlocks: 9
; VGPRBlocks: 22
; NumSGPRsForWavesPerEU: 78
; NumVGPRsForWavesPerEU: 184
; Occupancy: 8
; WaveLimiterHint : 0
; COMPUTE_PGM_RSRC2:SCRATCH_EN: 0
; COMPUTE_PGM_RSRC2:USER_SGPR: 15
; COMPUTE_PGM_RSRC2:TRAP_HANDLER: 0
; COMPUTE_PGM_RSRC2:TGID_X_EN: 1
; COMPUTE_PGM_RSRC2:TGID_Y_EN: 0
; COMPUTE_PGM_RSRC2:TGID_Z_EN: 0
; COMPUTE_PGM_RSRC2:TIDIG_COMP_CNT: 0
	.section	.text._ZN2at6native12_GLOBAL__N_143conv_depthwise3d_cuda_backward_input_kernelIddLi3ELi3ELi3ELin1ELin1ELin1ELin1ELin1ELin1EEEvN5torch10headeronly6detail27GenericPackedTensorAccessorINS5_14TensorAccessorIN3c108ArrayRefIlEEKT_Lm4ENS4_16DefaultPtrTraitsEiEENS_6detail16IndexBoundsCheckILm5EiEESC_Lm5ESD_iEENS6_INS7_ISA_SB_Lm4ESD_iEESH_SB_Lm5ESD_iEESI_iiiiiiiii,"axG",@progbits,_ZN2at6native12_GLOBAL__N_143conv_depthwise3d_cuda_backward_input_kernelIddLi3ELi3ELi3ELin1ELin1ELin1ELin1ELin1ELin1EEEvN5torch10headeronly6detail27GenericPackedTensorAccessorINS5_14TensorAccessorIN3c108ArrayRefIlEEKT_Lm4ENS4_16DefaultPtrTraitsEiEENS_6detail16IndexBoundsCheckILm5EiEESC_Lm5ESD_iEENS6_INS7_ISA_SB_Lm4ESD_iEESH_SB_Lm5ESD_iEESI_iiiiiiiii,comdat
	.globl	_ZN2at6native12_GLOBAL__N_143conv_depthwise3d_cuda_backward_input_kernelIddLi3ELi3ELi3ELin1ELin1ELin1ELin1ELin1ELin1EEEvN5torch10headeronly6detail27GenericPackedTensorAccessorINS5_14TensorAccessorIN3c108ArrayRefIlEEKT_Lm4ENS4_16DefaultPtrTraitsEiEENS_6detail16IndexBoundsCheckILm5EiEESC_Lm5ESD_iEENS6_INS7_ISA_SB_Lm4ESD_iEESH_SB_Lm5ESD_iEESI_iiiiiiiii ; -- Begin function _ZN2at6native12_GLOBAL__N_143conv_depthwise3d_cuda_backward_input_kernelIddLi3ELi3ELi3ELin1ELin1ELin1ELin1ELin1ELin1EEEvN5torch10headeronly6detail27GenericPackedTensorAccessorINS5_14TensorAccessorIN3c108ArrayRefIlEEKT_Lm4ENS4_16DefaultPtrTraitsEiEENS_6detail16IndexBoundsCheckILm5EiEESC_Lm5ESD_iEENS6_INS7_ISA_SB_Lm4ESD_iEESH_SB_Lm5ESD_iEESI_iiiiiiiii
	.p2align	8
	.type	_ZN2at6native12_GLOBAL__N_143conv_depthwise3d_cuda_backward_input_kernelIddLi3ELi3ELi3ELin1ELin1ELin1ELin1ELin1ELin1EEEvN5torch10headeronly6detail27GenericPackedTensorAccessorINS5_14TensorAccessorIN3c108ArrayRefIlEEKT_Lm4ENS4_16DefaultPtrTraitsEiEENS_6detail16IndexBoundsCheckILm5EiEESC_Lm5ESD_iEENS6_INS7_ISA_SB_Lm4ESD_iEESH_SB_Lm5ESD_iEESI_iiiiiiiii,@function
_ZN2at6native12_GLOBAL__N_143conv_depthwise3d_cuda_backward_input_kernelIddLi3ELi3ELi3ELin1ELin1ELin1ELin1ELin1ELin1EEEvN5torch10headeronly6detail27GenericPackedTensorAccessorINS5_14TensorAccessorIN3c108ArrayRefIlEEKT_Lm4ENS4_16DefaultPtrTraitsEiEENS_6detail16IndexBoundsCheckILm5EiEESC_Lm5ESD_iEENS6_INS7_ISA_SB_Lm4ESD_iEESH_SB_Lm5ESD_iEESI_iiiiiiiii: ; @_ZN2at6native12_GLOBAL__N_143conv_depthwise3d_cuda_backward_input_kernelIddLi3ELi3ELi3ELin1ELin1ELin1ELin1ELin1ELin1EEEvN5torch10headeronly6detail27GenericPackedTensorAccessorINS5_14TensorAccessorIN3c108ArrayRefIlEEKT_Lm4ENS4_16DefaultPtrTraitsEiEENS_6detail16IndexBoundsCheckILm5EiEESC_Lm5ESD_iEENS6_INS7_ISA_SB_Lm4ESD_iEESH_SB_Lm5ESD_iEESI_iiiiiiiii
; %bb.0:
	s_clause 0x2
	s_load_b128 s[44:47], s[0:1], 0x38
	s_load_b32 s4, s[0:1], 0xc4
	s_load_b64 s[92:93], s[0:1], 0x48
	s_mov_b32 s6, exec_lo
	s_waitcnt lgkmcnt(0)
	s_abs_i32 s76, s45
	s_add_u32 s2, s0, 0xb8
	v_cvt_f32_u32_e32 v1, s76
	s_addc_u32 s3, s1, 0
	s_and_b32 s4, s4, 0xffff
	s_mul_i32 s66, s93, s44
	s_delay_alu instid0(SALU_CYCLE_1) | instskip(SKIP_3) | instid1(VALU_DEP_1)
	s_ashr_i32 s67, s66, 31
	v_rcp_iflag_f32_e32 v2, v1
	s_waitcnt_depctr 0xfff
	v_dual_mov_b32 v1, 0 :: v_dual_mul_f32 v4, 0x4f7ffffe, v2
	v_mad_u64_u32 v[2:3], null, s4, s15, v[0:1]
	s_delay_alu instid0(VALU_DEP_2) | instskip(NEXT) | instid1(VALU_DEP_1)
	v_cvt_u32_f32_e32 v0, v4
	v_readfirstlane_b32 s5, v0
	s_delay_alu instid0(VALU_DEP_3)
	v_cmpx_gt_i64_e64 s[66:67], v[2:3]
	s_cbranch_execz .LBB15_61
; %bb.1:
	s_clause 0x2
	s_load_b32 s7, s[0:1], 0x7c
	s_load_b128 s[56:59], s[0:1], 0xc
	s_load_b64 s[8:9], s[0:1], 0x0
                                        ; implicit-def: $vgpr187 : SGPR spill to VGPR lane
	s_sub_i32 s6, 0, s76
	s_clause 0x1
	s_load_b256 s[48:55], s[0:1], 0x90
	s_load_b32 s10, s[0:1], 0xb0
	s_load_b32 s2, s[2:3], 0x0
	s_mul_i32 s3, s6, s5
	s_clause 0x1
	s_load_b64 s[12:13], s[0:1], 0x60
	s_load_b128 s[60:63], s[0:1], 0x50
	s_mul_hi_u32 s3, s5, s3
	s_ashr_i32 s73, s45, 31
	s_add_i32 s5, s5, s3
	s_clause 0x1
	s_load_b64 s[70:71], s[0:1], 0x1c
	s_load_b64 s[64:65], s[0:1], 0x30
	v_mul_lo_u32 v12, s6, v0
	s_mov_b32 s78, 0
	s_waitcnt lgkmcnt(0)
	v_writelane_b32 v187, s7, 0
	s_abs_i32 s3, s56
	s_ashr_i32 s7, s56, 31
	s_mul_hi_u32 s5, s3, s5
	s_xor_b32 s7, s7, s73
	v_writelane_b32 v187, s8, 1
	s_mul_i32 s72, s2, s4
	v_writelane_b32 v187, s9, 2
	s_mul_i32 s8, s5, s76
	s_delay_alu instid0(SALU_CYCLE_1)
	s_sub_i32 s3, s3, s8
	s_add_i32 s8, s5, 1
	s_sub_i32 s9, s3, s76
	s_cmp_ge_u32 s3, s76
	v_writelane_b32 v187, s12, 3
	s_cselect_b32 s0, s8, s5
	s_cselect_b32 s1, s9, s3
	s_add_i32 s3, s0, 1
	s_cmp_ge_u32 s1, s76
	v_writelane_b32 v187, s13, 4
	s_cselect_b32 s0, s3, s0
	s_abs_i32 s85, s92
	s_abs_i32 s86, s47
	v_cvt_f32_u32_e32 v1, s85
	s_abs_i32 s87, s46
	s_abs_i32 s88, s48
	v_cvt_f32_u32_e32 v4, s86
	s_abs_i32 s89, s49
	v_rcp_iflag_f32_e32 v1, v1
	s_abs_i32 s90, s50
	v_cvt_f32_u32_e32 v5, s87
	v_cvt_f32_u32_e32 v6, s88
	v_writelane_b32 v187, s10, 5
	v_cvt_f32_u32_e32 v7, s89
	v_cvt_f32_u32_e32 v8, s90
	v_rcp_iflag_f32_e32 v4, v4
	s_lshl_b32 s1, s10, 1
	v_rcp_iflag_f32_e32 v5, v5
	v_rcp_iflag_f32_e32 v6, v6
	v_writelane_b32 v187, s1, 6
	v_rcp_iflag_f32_e32 v7, v7
	v_rcp_iflag_f32_e32 v8, v8
	v_mul_f32_e32 v1, 0x4f7ffffe, v1
	s_lshl_b32 s1, s55, 1
	s_xor_b32 s0, s0, s7
	v_mul_f32_e32 v4, 0x4f7ffffe, v4
	v_writelane_b32 v187, s1, 7
	v_cvt_u32_f32_e32 v1, v1
	s_lshl_b32 s1, s54, 1
	v_dual_mul_f32 v5, 0x4f7ffffe, v5 :: v_dual_mul_f32 v6, 0x4f7ffffe, v6
	v_writelane_b32 v187, s1, 8
	s_sub_i32 s1, 0, s85
	v_dual_mul_f32 v7, 0x4f7ffffe, v7 :: v_dual_mul_f32 v8, 0x4f7ffffe, v8
	v_mul_lo_u32 v9, s1, v1
	v_cvt_u32_f32_e32 v6, v6
	v_cvt_u32_f32_e32 v4, v4
	;; [unrolled: 1-line block ×5, first 2 shown]
	s_sub_i32 s91, s0, s7
	s_sub_i32 s0, 0, s88
	;; [unrolled: 1-line block ×4, first 2 shown]
	v_mul_lo_u32 v13, s0, v6
	s_sub_i32 s0, 0, s89
	s_sub_i32 s1, 0, s90
	v_mul_lo_u32 v10, s2, v4
	v_mul_lo_u32 v11, s3, v5
	v_mul_hi_u32 v9, v1, v9
	v_mul_lo_u32 v14, s0, v7
	v_mul_lo_u32 v15, s1, v8
	s_ashr_i32 s77, s92, 31
	s_ashr_i32 s84, s47, 31
	;; [unrolled: 1-line block ×3, first 2 shown]
	v_mul_hi_u32 v10, v4, v10
	s_ashr_i32 s94, s48, 31
	v_add_nc_u32_e32 v172, v1, v9
	v_mul_hi_u32 v1, v5, v11
	v_mul_hi_u32 v9, v0, v12
	;; [unrolled: 1-line block ×5, first 2 shown]
	v_add_nc_u32_e32 v173, v4, v10
	s_ashr_i32 s95, s49, 31
	s_ashr_i32 s96, s50, 31
	v_add_nc_u32_e32 v174, v5, v1
	v_add_nc_u32_e32 v175, v0, v9
	;; [unrolled: 1-line block ×5, first 2 shown]
	v_writelane_b32 v187, s1, 9
	s_branch .LBB15_4
.LBB15_2:                               ;   in Loop: Header=BB15_4 Depth=1
	v_readlane_b32 s1, v187, 9
.LBB15_3:                               ;   in Loop: Header=BB15_4 Depth=1
	s_or_b32 exec_lo, exec_lo, s98
	v_mul_lo_u32 v0, v183, s93
	v_mul_lo_u32 v4, s60, v181
	;; [unrolled: 1-line block ×4, first 2 shown]
	v_add_co_u32 v2, vcc_lo, v2, s72
	v_add_co_ci_u32_e32 v3, vcc_lo, 0, v3, vcc_lo
	v_ashrrev_i32_e32 v1, 31, v0
	v_ashrrev_i32_e32 v5, 31, v4
	;; [unrolled: 1-line block ×3, first 2 shown]
	v_mul_lo_u32 v10, s63, v179
	v_ashrrev_i32_e32 v9, 31, v8
	v_lshlrev_b64 v[0:1], 3, v[0:1]
	v_lshlrev_b64 v[4:5], 3, v[4:5]
	s_delay_alu instid0(VALU_DEP_4) | instskip(NEXT) | instid1(VALU_DEP_3)
	v_ashrrev_i32_e32 v11, 31, v10
	v_add_co_u32 v12, vcc_lo, s64, v0
	s_delay_alu instid0(VALU_DEP_4) | instskip(SKIP_1) | instid1(VALU_DEP_3)
	v_add_co_ci_u32_e32 v13, vcc_lo, s65, v1, vcc_lo
	v_lshlrev_b64 v[0:1], 3, v[6:7]
	v_add_co_u32 v6, vcc_lo, v12, v4
	s_delay_alu instid0(VALU_DEP_3) | instskip(SKIP_1) | instid1(VALU_DEP_3)
	v_add_co_ci_u32_e32 v7, vcc_lo, v13, v5, vcc_lo
	v_lshlrev_b64 v[4:5], 3, v[8:9]
	v_add_co_u32 v6, vcc_lo, v6, v0
	s_delay_alu instid0(VALU_DEP_3) | instskip(SKIP_1) | instid1(VALU_DEP_3)
	;; [unrolled: 4-line block ×3, first 2 shown]
	v_add_co_ci_u32_e32 v5, vcc_lo, v7, v5, vcc_lo
	v_cmp_le_i64_e32 vcc_lo, s[66:67], v[2:3]
	v_add_co_u32 v0, s0, v4, v0
	s_delay_alu instid0(VALU_DEP_1)
	v_add_co_ci_u32_e64 v1, s0, v5, v1, s0
	s_or_b32 s78, vcc_lo, s78
	global_store_b64 v[0:1], v[62:63], off
	s_and_not1_b32 exec_lo, exec_lo, s78
	s_cbranch_execz .LBB15_61
.LBB15_4:                               ; =>This Loop Header: Depth=1
                                        ;     Child Loop BB15_7 Depth 2
	v_sub_nc_u32_e32 v0, 0, v2
	v_mov_b32_e32 v62, 0
	s_mov_b32 s98, exec_lo
	v_mov_b32_e32 v63, 0
	s_delay_alu instid0(VALU_DEP_3) | instskip(NEXT) | instid1(VALU_DEP_1)
	v_max_i32_e32 v0, v2, v0
	v_mul_hi_u32 v1, v0, v172
	s_delay_alu instid0(VALU_DEP_1) | instskip(NEXT) | instid1(VALU_DEP_1)
	v_mul_lo_u32 v4, v1, s85
	v_sub_nc_u32_e32 v0, v0, v4
	v_add_nc_u32_e32 v4, 1, v1
	s_delay_alu instid0(VALU_DEP_2) | instskip(SKIP_1) | instid1(VALU_DEP_2)
	v_subrev_nc_u32_e32 v5, s85, v0
	v_cmp_le_u32_e32 vcc_lo, s85, v0
	v_dual_cndmask_b32 v1, v1, v4 :: v_dual_cndmask_b32 v0, v0, v5
	v_ashrrev_i32_e32 v4, 31, v2
	s_delay_alu instid0(VALU_DEP_2) | instskip(NEXT) | instid1(VALU_DEP_3)
	v_add_nc_u32_e32 v5, 1, v1
	v_cmp_le_u32_e32 vcc_lo, s85, v0
	s_delay_alu instid0(VALU_DEP_3) | instskip(NEXT) | instid1(VALU_DEP_3)
	v_xor_b32_e32 v4, s77, v4
	v_cndmask_b32_e32 v0, v1, v5, vcc_lo
	s_delay_alu instid0(VALU_DEP_1) | instskip(NEXT) | instid1(VALU_DEP_1)
	v_xor_b32_e32 v0, v0, v4
	v_sub_nc_u32_e32 v1, v0, v4
	s_delay_alu instid0(VALU_DEP_1) | instskip(NEXT) | instid1(VALU_DEP_1)
	v_sub_nc_u32_e32 v0, 0, v1
	v_max_i32_e32 v0, v1, v0
	s_delay_alu instid0(VALU_DEP_1) | instskip(NEXT) | instid1(VALU_DEP_1)
	v_mul_hi_u32 v4, v0, v173
	v_mul_lo_u32 v5, v4, s86
	s_delay_alu instid0(VALU_DEP_1) | instskip(SKIP_1) | instid1(VALU_DEP_2)
	v_sub_nc_u32_e32 v0, v0, v5
	v_add_nc_u32_e32 v5, 1, v4
	v_subrev_nc_u32_e32 v6, s86, v0
	v_cmp_le_u32_e32 vcc_lo, s86, v0
	s_delay_alu instid0(VALU_DEP_3) | instskip(NEXT) | instid1(VALU_DEP_3)
	v_cndmask_b32_e32 v4, v4, v5, vcc_lo
	v_cndmask_b32_e32 v0, v0, v6, vcc_lo
	v_ashrrev_i32_e32 v5, 31, v1
	s_delay_alu instid0(VALU_DEP_3) | instskip(NEXT) | instid1(VALU_DEP_3)
	v_add_nc_u32_e32 v6, 1, v4
	v_cmp_le_u32_e32 vcc_lo, s86, v0
	s_delay_alu instid0(VALU_DEP_3) | instskip(NEXT) | instid1(VALU_DEP_3)
	v_xor_b32_e32 v5, s84, v5
	v_cndmask_b32_e32 v0, v4, v6, vcc_lo
	s_delay_alu instid0(VALU_DEP_1) | instskip(NEXT) | instid1(VALU_DEP_1)
	v_xor_b32_e32 v0, v0, v5
	v_sub_nc_u32_e32 v4, v0, v5
	s_delay_alu instid0(VALU_DEP_1) | instskip(NEXT) | instid1(VALU_DEP_1)
	v_sub_nc_u32_e32 v0, 0, v4
	v_max_i32_e32 v0, v4, v0
	s_delay_alu instid0(VALU_DEP_1) | instskip(NEXT) | instid1(VALU_DEP_1)
	v_mul_hi_u32 v5, v0, v174
	v_mul_lo_u32 v6, v5, s87
	s_delay_alu instid0(VALU_DEP_1) | instskip(SKIP_1) | instid1(VALU_DEP_2)
	v_sub_nc_u32_e32 v0, v0, v6
	v_add_nc_u32_e32 v6, 1, v5
	v_subrev_nc_u32_e32 v7, s87, v0
	v_cmp_le_u32_e32 vcc_lo, s87, v0
	s_delay_alu instid0(VALU_DEP_2) | instskip(SKIP_1) | instid1(VALU_DEP_2)
	v_dual_cndmask_b32 v5, v5, v6 :: v_dual_cndmask_b32 v0, v0, v7
	v_ashrrev_i32_e32 v6, 31, v4
	v_add_nc_u32_e32 v7, 1, v5
	s_delay_alu instid0(VALU_DEP_3) | instskip(NEXT) | instid1(VALU_DEP_3)
	v_cmp_le_u32_e32 vcc_lo, s87, v0
	v_xor_b32_e32 v6, s1, v6
	s_delay_alu instid0(VALU_DEP_3) | instskip(NEXT) | instid1(VALU_DEP_1)
	v_cndmask_b32_e32 v0, v5, v7, vcc_lo
	v_xor_b32_e32 v0, v0, v6
	s_delay_alu instid0(VALU_DEP_1) | instskip(NEXT) | instid1(VALU_DEP_1)
	v_sub_nc_u32_e32 v5, v0, v6
	v_sub_nc_u32_e32 v0, 0, v5
	s_delay_alu instid0(VALU_DEP_1) | instskip(NEXT) | instid1(VALU_DEP_1)
	v_max_i32_e32 v0, v5, v0
	v_mul_hi_u32 v6, v0, v175
	s_delay_alu instid0(VALU_DEP_1) | instskip(NEXT) | instid1(VALU_DEP_1)
	v_mul_lo_u32 v7, v6, s76
	v_sub_nc_u32_e32 v0, v0, v7
	v_add_nc_u32_e32 v7, 1, v6
	s_delay_alu instid0(VALU_DEP_2) | instskip(SKIP_1) | instid1(VALU_DEP_3)
	v_subrev_nc_u32_e32 v8, s76, v0
	v_cmp_le_u32_e32 vcc_lo, s76, v0
	v_cndmask_b32_e32 v6, v6, v7, vcc_lo
	s_delay_alu instid0(VALU_DEP_3) | instskip(SKIP_1) | instid1(VALU_DEP_3)
	v_cndmask_b32_e32 v0, v0, v8, vcc_lo
	v_ashrrev_i32_e32 v7, 31, v5
	v_add_nc_u32_e32 v8, 1, v6
	s_delay_alu instid0(VALU_DEP_3) | instskip(NEXT) | instid1(VALU_DEP_3)
	v_cmp_le_u32_e32 vcc_lo, s76, v0
	v_xor_b32_e32 v7, s73, v7
	s_delay_alu instid0(VALU_DEP_3) | instskip(SKIP_1) | instid1(VALU_DEP_2)
	v_cndmask_b32_e32 v0, v6, v8, vcc_lo
	v_mul_lo_u32 v6, v1, s92
	v_xor_b32_e32 v0, v0, v7
	s_delay_alu instid0(VALU_DEP_2) | instskip(NEXT) | instid1(VALU_DEP_2)
	v_sub_nc_u32_e32 v179, v2, v6
	v_sub_nc_u32_e32 v183, v0, v7
	v_mul_lo_u32 v7, v4, s47
	s_delay_alu instid0(VALU_DEP_2) | instskip(NEXT) | instid1(VALU_DEP_2)
	v_mul_lo_u32 v0, v183, s45
	v_sub_nc_u32_e32 v180, v1, v7
	s_delay_alu instid0(VALU_DEP_2) | instskip(SKIP_1) | instid1(VALU_DEP_2)
	v_sub_nc_u32_e32 v181, v5, v0
	v_mul_lo_u32 v5, v5, s46
	v_mul_lo_u32 v0, v181, s91
	s_delay_alu instid0(VALU_DEP_2) | instskip(NEXT) | instid1(VALU_DEP_2)
	v_sub_nc_u32_e32 v182, v4, v5
	v_add_nc_u32_e32 v8, s91, v0
	s_delay_alu instid0(VALU_DEP_1)
	v_cmpx_lt_i32_e64 v0, v8
	s_cbranch_execz .LBB15_3
; %bb.5:                                ;   in Loop: Header=BB15_4 Depth=1
	v_add_nc_u32_e32 v5, s53, v179
	v_readlane_b32 s0, v187, 0
	s_delay_alu instid0(VALU_DEP_2) | instskip(NEXT) | instid1(VALU_DEP_2)
	v_sub_nc_u32_e32 v1, 0, v5
	v_mul_lo_u32 v0, s0, v0
	v_readlane_b32 s0, v187, 5
	s_delay_alu instid0(VALU_DEP_3) | instskip(NEXT) | instid1(VALU_DEP_1)
	v_max_i32_e32 v1, v5, v1
	v_mul_hi_u32 v4, v1, v178
	s_delay_alu instid0(VALU_DEP_1) | instskip(NEXT) | instid1(VALU_DEP_1)
	v_mul_lo_u32 v6, v4, s90
	v_sub_nc_u32_e32 v1, v1, v6
	s_delay_alu instid0(VALU_DEP_1) | instskip(SKIP_1) | instid1(VALU_DEP_2)
	v_subrev_nc_u32_e32 v7, s90, v1
	v_cmp_le_u32_e32 vcc_lo, s90, v1
	v_dual_cndmask_b32 v1, v1, v7 :: v_dual_add_nc_u32 v6, 1, v4
	s_delay_alu instid0(VALU_DEP_1)
	v_cndmask_b32_e32 v4, v4, v6, vcc_lo
	v_ashrrev_i32_e32 v6, 31, v5
	v_subrev_nc_u32_e32 v8, s0, v5
	v_readlane_b32 s0, v187, 6
	v_cmp_le_u32_e32 vcc_lo, s90, v1
	v_add_nc_u32_e32 v7, 1, v4
	v_xor_b32_e32 v6, s96, v6
	s_delay_alu instid0(VALU_DEP_2)
	v_cndmask_b32_e32 v1, v4, v7, vcc_lo
	v_subrev_nc_u32_e32 v7, s0, v5
	v_sub_nc_u32_e32 v4, 0, v8
	v_readlane_b32 s0, v187, 3
	v_readlane_b32 s1, v187, 4
	v_xor_b32_e32 v9, v1, v6
	v_sub_nc_u32_e32 v10, 0, v7
	v_max_i32_e32 v11, v8, v4
	v_ashrrev_i32_e32 v1, 31, v0
	s_delay_alu instid0(VALU_DEP_4) | instskip(NEXT) | instid1(VALU_DEP_4)
	v_sub_nc_u32_e32 v4, v9, v6
	v_max_i32_e32 v6, v7, v10
	s_delay_alu instid0(VALU_DEP_4) | instskip(NEXT) | instid1(VALU_DEP_4)
	v_mul_hi_u32 v9, v11, v178
	v_lshlrev_b64 v[0:1], 3, v[0:1]
	s_delay_alu instid0(VALU_DEP_4) | instskip(NEXT) | instid1(VALU_DEP_4)
	v_mul_lo_u32 v10, v4, s50
	v_mul_hi_u32 v12, v6, v178
	v_cmp_gt_i32_e64 s42, s59, v4
	s_delay_alu instid0(VALU_DEP_4)
	v_add_co_u32 v0, vcc_lo, s0, v0
	v_mul_lo_u32 v13, v9, s90
	v_add_co_ci_u32_e32 v1, vcc_lo, s1, v1, vcc_lo
	v_cmp_eq_u32_e32 vcc_lo, v10, v5
	v_add_nc_u32_e32 v10, s52, v180
	v_mul_lo_u32 v5, v12, s90
	v_sub_nc_u32_e32 v11, v11, v13
	s_delay_alu instid0(VALU_DEP_3) | instskip(NEXT) | instid1(VALU_DEP_3)
	v_subrev_nc_u32_e32 v13, s55, v10
	v_sub_nc_u32_e32 v5, v6, v5
	s_delay_alu instid0(VALU_DEP_2) | instskip(NEXT) | instid1(VALU_DEP_4)
	v_sub_nc_u32_e32 v6, 0, v13
	v_cmp_le_u32_e64 s0, s90, v11
	s_delay_alu instid0(VALU_DEP_2) | instskip(NEXT) | instid1(VALU_DEP_1)
	v_max_i32_e32 v6, v13, v6
	v_mul_hi_u32 v14, v6, v177
	s_delay_alu instid0(VALU_DEP_1) | instskip(NEXT) | instid1(VALU_DEP_1)
	v_mul_lo_u32 v15, v14, s89
	v_sub_nc_u32_e32 v6, v6, v15
	v_subrev_nc_u32_e32 v15, s90, v11
	s_delay_alu instid0(VALU_DEP_1) | instskip(SKIP_1) | instid1(VALU_DEP_1)
	v_cndmask_b32_e64 v11, v11, v15, s0
	v_add_nc_u32_e32 v15, 1, v9
	v_cndmask_b32_e64 v9, v9, v15, s0
	v_subrev_nc_u32_e32 v15, s90, v5
	v_cmp_le_u32_e64 s0, s90, v5
	s_delay_alu instid0(VALU_DEP_1) | instskip(SKIP_1) | instid1(VALU_DEP_1)
	v_cndmask_b32_e64 v5, v5, v15, s0
	v_add_nc_u32_e32 v15, 1, v12
	v_cndmask_b32_e64 v12, v12, v15, s0
	v_subrev_nc_u32_e32 v15, s89, v6
	v_cmp_le_u32_e64 s0, s89, v6
	s_delay_alu instid0(VALU_DEP_1) | instskip(SKIP_1) | instid1(VALU_DEP_1)
	v_cndmask_b32_e64 v15, v6, v15, s0
	v_add_nc_u32_e32 v6, 1, v14
	v_cndmask_b32_e64 v14, v14, v6, s0
	v_add_nc_u32_e32 v6, 1, v9
	v_cmp_le_u32_e64 s0, s90, v11
	v_sub_nc_u32_e32 v11, 0, v10
	s_delay_alu instid0(VALU_DEP_2) | instskip(SKIP_4) | instid1(VALU_DEP_3)
	v_cndmask_b32_e64 v6, v9, v6, s0
	v_cmp_le_u32_e64 s0, s90, v5
	v_ashrrev_i32_e32 v5, 31, v8
	v_add_nc_u32_e32 v9, 1, v12
	v_max_i32_e32 v11, v10, v11
	v_xor_b32_e32 v5, s96, v5
	s_delay_alu instid0(VALU_DEP_3) | instskip(SKIP_2) | instid1(VALU_DEP_4)
	v_cndmask_b32_e64 v9, v12, v9, s0
	v_cmp_le_u32_e64 s0, s89, v15
	v_ashrrev_i32_e32 v12, 31, v13
	v_xor_b32_e32 v6, v6, v5
	s_delay_alu instid0(VALU_DEP_2) | instskip(NEXT) | instid1(VALU_DEP_2)
	v_xor_b32_e32 v12, s95, v12
	v_sub_nc_u32_e32 v5, v6, v5
	v_ashrrev_i32_e32 v6, 31, v7
	s_delay_alu instid0(VALU_DEP_2) | instskip(NEXT) | instid1(VALU_DEP_2)
	v_cmp_gt_i32_e64 s43, s59, v5
	v_xor_b32_e32 v6, s96, v6
	s_delay_alu instid0(VALU_DEP_1) | instskip(NEXT) | instid1(VALU_DEP_1)
	v_xor_b32_e32 v9, v9, v6
	v_sub_nc_u32_e32 v6, v9, v6
	v_mul_lo_u32 v9, v5, s50
	s_delay_alu instid0(VALU_DEP_2) | instskip(NEXT) | instid1(VALU_DEP_2)
	v_cmp_gt_i32_e64 s44, s59, v6
	v_cmp_eq_u32_e64 s10, v9, v8
	v_mul_lo_u32 v9, v6, s50
	v_add_nc_u32_e32 v8, 1, v14
	s_delay_alu instid0(VALU_DEP_1) | instskip(SKIP_1) | instid1(VALU_DEP_4)
	v_cndmask_b32_e64 v8, v14, v8, s0
	v_readlane_b32 s0, v187, 7
	v_cmp_eq_u32_e64 s7, v9, v7
	v_mul_hi_u32 v9, v11, v177
	s_delay_alu instid0(VALU_DEP_4) | instskip(NEXT) | instid1(VALU_DEP_1)
	v_xor_b32_e32 v7, v8, v12
	v_sub_nc_u32_e32 v7, v7, v12
	s_delay_alu instid0(VALU_DEP_3) | instskip(NEXT) | instid1(VALU_DEP_2)
	v_mul_lo_u32 v8, v9, s89
	v_mul_lo_u32 v12, v7, s49
	v_cmp_gt_i32_e64 s34, s58, v7
	s_delay_alu instid0(VALU_DEP_3) | instskip(SKIP_1) | instid1(VALU_DEP_4)
	v_sub_nc_u32_e32 v8, v11, v8
	v_subrev_nc_u32_e32 v11, s0, v10
	v_cmp_eq_u32_e64 s23, v12, v13
	s_delay_alu instid0(VALU_DEP_3) | instskip(NEXT) | instid1(VALU_DEP_3)
	v_subrev_nc_u32_e32 v12, s89, v8
	v_sub_nc_u32_e32 v13, 0, v11
	v_cmp_le_u32_e64 s0, s89, v8
	s_delay_alu instid0(VALU_DEP_2) | instskip(NEXT) | instid1(VALU_DEP_2)
	v_max_i32_e32 v13, v11, v13
	v_cndmask_b32_e64 v8, v8, v12, s0
	v_add_nc_u32_e32 v12, 1, v9
	s_delay_alu instid0(VALU_DEP_1) | instskip(NEXT) | instid1(VALU_DEP_4)
	v_cndmask_b32_e64 v9, v9, v12, s0
	v_mul_hi_u32 v12, v13, v177
	s_delay_alu instid0(VALU_DEP_4) | instskip(NEXT) | instid1(VALU_DEP_2)
	v_cmp_le_u32_e64 s0, s89, v8
	v_mul_lo_u32 v14, v12, s89
	s_delay_alu instid0(VALU_DEP_1) | instskip(SKIP_1) | instid1(VALU_DEP_1)
	v_sub_nc_u32_e32 v13, v13, v14
	v_add_nc_u32_e32 v14, 1, v9
	v_cndmask_b32_e64 v8, v9, v14, s0
	s_delay_alu instid0(VALU_DEP_3) | instskip(SKIP_1) | instid1(VALU_DEP_1)
	v_subrev_nc_u32_e32 v9, s89, v13
	v_cmp_le_u32_e64 s0, s89, v13
	v_cndmask_b32_e64 v13, v13, v9, s0
	v_add_nc_u32_e32 v9, 1, v12
	s_delay_alu instid0(VALU_DEP_1) | instskip(SKIP_1) | instid1(VALU_DEP_4)
	v_cndmask_b32_e64 v12, v12, v9, s0
	v_ashrrev_i32_e32 v9, 31, v10
	v_cmp_le_u32_e64 s0, s89, v13
	v_ashrrev_i32_e32 v13, 31, v11
	s_delay_alu instid0(VALU_DEP_3) | instskip(NEXT) | instid1(VALU_DEP_1)
	v_xor_b32_e32 v9, s95, v9
	v_xor_b32_e32 v8, v8, v9
	s_delay_alu instid0(VALU_DEP_1) | instskip(SKIP_1) | instid1(VALU_DEP_2)
	v_sub_nc_u32_e32 v9, v8, v9
	v_add_nc_u32_e32 v8, 1, v12
	v_cmp_gt_i32_e64 s37, s58, v9
	s_delay_alu instid0(VALU_DEP_2) | instskip(SKIP_2) | instid1(VALU_DEP_4)
	v_cndmask_b32_e64 v8, v12, v8, s0
	v_xor_b32_e32 v12, s95, v13
	v_mul_lo_u32 v13, v9, s49
	s_and_b32 s81, s43, s37
	s_and_b32 s82, s44, s37
	s_delay_alu instid0(VALU_DEP_2) | instskip(SKIP_1) | instid1(VALU_DEP_2)
	v_xor_b32_e32 v8, v8, v12
	s_and_b32 s75, s42, s37
	v_cmp_eq_u32_e64 s20, v13, v10
	s_delay_alu instid0(VALU_DEP_2) | instskip(SKIP_1) | instid1(VALU_DEP_2)
	v_sub_nc_u32_e32 v8, v8, v12
	v_add_nc_u32_e32 v12, s51, v182
	v_mul_lo_u32 v10, v8, s49
	s_delay_alu instid0(VALU_DEP_2) | instskip(SKIP_1) | instid1(VALU_DEP_3)
	v_subrev_nc_u32_e32 v13, s54, v12
	v_cmp_gt_i32_e64 s29, s58, v8
	v_cmp_eq_u32_e64 s26, v10, v11
	s_delay_alu instid0(VALU_DEP_3) | instskip(NEXT) | instid1(VALU_DEP_1)
	v_sub_nc_u32_e32 v10, 0, v13
	v_max_i32_e32 v10, v13, v10
	s_delay_alu instid0(VALU_DEP_1) | instskip(NEXT) | instid1(VALU_DEP_1)
	v_mul_hi_u32 v11, v10, v176
	v_mul_lo_u32 v14, v11, s88
	s_delay_alu instid0(VALU_DEP_1) | instskip(NEXT) | instid1(VALU_DEP_1)
	v_sub_nc_u32_e32 v10, v10, v14
	v_subrev_nc_u32_e32 v14, s88, v10
	v_cmp_le_u32_e64 s0, s88, v10
	s_delay_alu instid0(VALU_DEP_1) | instskip(SKIP_1) | instid1(VALU_DEP_1)
	v_cndmask_b32_e64 v10, v10, v14, s0
	v_add_nc_u32_e32 v14, 1, v11
	v_cndmask_b32_e64 v11, v11, v14, s0
	s_delay_alu instid0(VALU_DEP_3) | instskip(NEXT) | instid1(VALU_DEP_2)
	v_cmp_le_u32_e64 s0, s88, v10
	v_add_nc_u32_e32 v14, 1, v11
	s_delay_alu instid0(VALU_DEP_1) | instskip(SKIP_1) | instid1(VALU_DEP_1)
	v_cndmask_b32_e64 v10, v11, v14, s0
	v_ashrrev_i32_e32 v11, 31, v13
	v_xor_b32_e32 v11, s94, v11
	s_delay_alu instid0(VALU_DEP_1) | instskip(NEXT) | instid1(VALU_DEP_1)
	v_xor_b32_e32 v10, v10, v11
	v_sub_nc_u32_e32 v10, v10, v11
	s_delay_alu instid0(VALU_DEP_1) | instskip(SKIP_1) | instid1(VALU_DEP_2)
	v_mul_lo_u32 v11, v10, s48
	v_cmp_gt_i32_e64 s38, s57, v10
	v_cmp_eq_u32_e64 s17, v11, v13
	v_sub_nc_u32_e32 v11, 0, v12
	s_delay_alu instid0(VALU_DEP_2) | instskip(NEXT) | instid1(VALU_DEP_1)
	s_and_b32 s69, s17, s23
	v_max_i32_e32 v11, v12, v11
	s_and_b32 s83, s17, s26
	s_delay_alu instid0(VALU_DEP_1) | instskip(NEXT) | instid1(VALU_DEP_1)
	v_mul_hi_u32 v13, v11, v176
	v_mul_lo_u32 v14, v13, s88
	s_delay_alu instid0(VALU_DEP_1) | instskip(NEXT) | instid1(VALU_DEP_1)
	v_sub_nc_u32_e32 v11, v11, v14
	v_subrev_nc_u32_e32 v14, s88, v11
	v_cmp_le_u32_e64 s0, s88, v11
	s_delay_alu instid0(VALU_DEP_1) | instskip(SKIP_1) | instid1(VALU_DEP_1)
	v_cndmask_b32_e64 v11, v11, v14, s0
	v_add_nc_u32_e32 v14, 1, v13
	v_cndmask_b32_e64 v13, v13, v14, s0
	s_delay_alu instid0(VALU_DEP_3) | instskip(NEXT) | instid1(VALU_DEP_2)
	v_cmp_le_u32_e64 s0, s88, v11
	v_add_nc_u32_e32 v14, 1, v13
	s_delay_alu instid0(VALU_DEP_1) | instskip(SKIP_2) | instid1(VALU_DEP_2)
	v_cndmask_b32_e64 v11, v13, v14, s0
	v_ashrrev_i32_e32 v13, 31, v12
	v_readlane_b32 s0, v187, 8
	v_xor_b32_e32 v13, s94, v13
	s_delay_alu instid0(VALU_DEP_1) | instskip(NEXT) | instid1(VALU_DEP_1)
	v_xor_b32_e32 v11, v11, v13
	v_sub_nc_u32_e32 v13, v11, v13
	s_delay_alu instid0(VALU_DEP_1) | instskip(SKIP_1) | instid1(VALU_DEP_2)
	v_mul_lo_u32 v11, v13, s48
	v_cmp_gt_i32_e64 s36, s57, v13
	v_cmp_eq_u32_e64 s6, v11, v12
	v_subrev_nc_u32_e32 v11, s0, v12
	s_delay_alu instid0(VALU_DEP_2) | instskip(NEXT) | instid1(VALU_DEP_1)
	s_and_b32 s56, s6, s20
	v_sub_nc_u32_e32 v12, 0, v11
	s_delay_alu instid0(VALU_DEP_1) | instskip(NEXT) | instid1(VALU_DEP_1)
	v_max_i32_e32 v12, v11, v12
	v_mul_hi_u32 v14, v12, v176
	s_delay_alu instid0(VALU_DEP_1) | instskip(NEXT) | instid1(VALU_DEP_1)
	v_mul_lo_u32 v15, v14, s88
	v_sub_nc_u32_e32 v12, v12, v15
	s_delay_alu instid0(VALU_DEP_1) | instskip(SKIP_1) | instid1(VALU_DEP_1)
	v_subrev_nc_u32_e32 v15, s88, v12
	v_cmp_le_u32_e64 s0, s88, v12
	v_cndmask_b32_e64 v12, v12, v15, s0
	v_add_nc_u32_e32 v15, 1, v14
	s_delay_alu instid0(VALU_DEP_1) | instskip(NEXT) | instid1(VALU_DEP_3)
	v_cndmask_b32_e64 v14, v14, v15, s0
	v_cmp_le_u32_e64 s0, s88, v12
	s_delay_alu instid0(VALU_DEP_2) | instskip(NEXT) | instid1(VALU_DEP_1)
	v_add_nc_u32_e32 v15, 1, v14
	v_cndmask_b32_e64 v12, v14, v15, s0
	v_ashrrev_i32_e32 v14, 31, v11
	v_readlane_b32 s0, v187, 1
	v_readlane_b32 s1, v187, 2
	s_delay_alu instid0(VALU_DEP_3) | instskip(NEXT) | instid1(VALU_DEP_1)
	v_xor_b32_e32 v14, s94, v14
	v_xor_b32_e32 v12, v12, v14
	s_delay_alu instid0(VALU_DEP_1) | instskip(NEXT) | instid1(VALU_DEP_1)
	v_sub_nc_u32_e32 v14, v12, v14
	v_mul_lo_u32 v12, v14, s48
	v_cmp_gt_i32_e64 s28, s57, v14
	s_delay_alu instid0(VALU_DEP_2) | instskip(SKIP_1) | instid1(VALU_DEP_1)
	v_cmp_eq_u32_e64 s27, v12, v11
	v_mul_lo_u32 v11, s70, v183
	v_ashrrev_i32_e32 v12, 31, v11
	s_delay_alu instid0(VALU_DEP_1) | instskip(NEXT) | instid1(VALU_DEP_1)
	v_lshlrev_b64 v[11:12], 3, v[11:12]
	v_add_co_u32 v184, s0, s0, v11
	v_or_b32_e32 v11, v4, v9
	s_delay_alu instid0(VALU_DEP_3) | instskip(NEXT) | instid1(VALU_DEP_2)
	v_add_co_ci_u32_e64 v185, s0, s1, v12, s0
	v_or_b32_e32 v12, v11, v13
	s_delay_alu instid0(VALU_DEP_1) | instskip(SKIP_1) | instid1(VALU_DEP_2)
	v_cmp_lt_i32_e64 s0, -1, v12
	v_or_b32_e32 v12, v5, v9
	s_and_b32 s0, s42, s0
	s_delay_alu instid0(VALU_DEP_1) | instskip(SKIP_1) | instid1(SALU_CYCLE_1)
	v_or_b32_e32 v15, v12, v13
	s_and_b32 s0, s0, s37
	s_and_b32 s99, s0, s36
	s_delay_alu instid0(VALU_DEP_1) | instskip(SKIP_1) | instid1(VALU_DEP_2)
	v_cmp_lt_i32_e64 s1, -1, v15
	v_or_b32_e32 v15, v6, v9
	s_and_b32 s0, s43, s1
	s_delay_alu instid0(VALU_DEP_1) | instskip(SKIP_3) | instid1(VALU_DEP_1)
	v_or_b32_e32 v16, v15, v13
	s_and_b32 s1, s0, s37
	s_and_b32 s0, s56, vcc_lo
	s_and_b32 s100, s1, s36
	v_cmp_lt_i32_e64 s2, -1, v16
	v_or_b32_e32 v16, v4, v7
	s_delay_alu instid0(VALU_DEP_2) | instskip(NEXT) | instid1(VALU_DEP_1)
	s_and_b32 s1, s44, s2
	v_or_b32_e32 v17, v16, v13
	s_and_b32 s2, s1, s37
	s_and_b32 s1, s56, s10
	;; [unrolled: 1-line block ×4, first 2 shown]
	v_cmp_lt_i32_e64 s3, -1, v17
	v_or_b32_e32 v17, v5, v7
	s_and_b32 s56, s6, s23
	s_delay_alu instid0(VALU_DEP_2) | instskip(NEXT) | instid1(VALU_DEP_1)
	s_and_b32 s3, s42, s3
	v_or_b32_e32 v18, v17, v13
	s_and_b32 s3, s3, s34
	s_delay_alu instid0(SALU_CYCLE_1) | instskip(NEXT) | instid1(VALU_DEP_1)
	s_and_b32 s102, s3, s36
	v_cmp_lt_i32_e64 s4, -1, v18
	v_or_b32_e32 v18, v6, v7
	s_delay_alu instid0(VALU_DEP_2) | instskip(NEXT) | instid1(VALU_DEP_1)
	s_and_b32 s3, s43, s4
	v_or_b32_e32 v19, v18, v13
	s_and_b32 s4, s3, s34
	s_and_b32 s3, s56, vcc_lo
	s_and_b32 s103, s4, s36
	s_delay_alu instid0(VALU_DEP_1) | instskip(SKIP_1) | instid1(VALU_DEP_2)
	v_cmp_lt_i32_e64 s5, -1, v19
	v_or_b32_e32 v19, v4, v8
	s_and_b32 s4, s44, s5
	s_delay_alu instid0(VALU_DEP_1)
	v_or_b32_e32 v20, v19, v13
	s_and_b32 s5, s4, s34
	s_and_b32 s4, s56, s10
	;; [unrolled: 1-line block ×4, first 2 shown]
	v_cmp_lt_i32_e64 s8, -1, v20
	v_or_b32_e32 v20, v5, v8
	s_and_b32 s56, s6, s26
	s_and_b32 s26, s27, s26
	s_delay_alu instid0(VALU_DEP_2) | instskip(NEXT) | instid1(VALU_DEP_1)
	s_and_b32 s8, s42, s8
	v_or_b32_e32 v21, v20, v13
	s_and_b32 s8, s8, s29
	s_delay_alu instid0(SALU_CYCLE_1) | instskip(NEXT) | instid1(VALU_DEP_1)
	s_and_b32 vcc_hi, s8, s36
	v_cmp_lt_i32_e64 s9, -1, v21
	v_or_b32_e32 v21, v6, v8
	s_delay_alu instid0(VALU_DEP_2) | instskip(NEXT) | instid1(VALU_DEP_1)
	s_and_b32 s6, s43, s9
	v_or_b32_e32 v22, v21, v13
	s_and_b32 s8, s6, s29
	s_and_b32 s6, s56, vcc_lo
	s_and_b32 s80, s8, s36
	s_delay_alu instid0(VALU_DEP_1) | instskip(SKIP_2) | instid1(VALU_DEP_3)
	v_cmp_lt_i32_e64 s35, -1, v22
	v_or_b32_e32 v22, v11, v10
	v_or_b32_e32 v11, v11, v14
	s_and_b32 s8, s44, s35
	s_delay_alu instid0(VALU_DEP_2) | instskip(SKIP_1) | instid1(VALU_DEP_3)
	v_cmp_lt_i32_e64 s31, -1, v22
	v_or_b32_e32 v22, v12, v10
	v_cmp_lt_i32_e64 s21, -1, v11
	v_or_b32_e32 v11, v12, v14
	v_or_b32_e32 v12, v19, v14
	s_and_b32 s9, s8, s29
	v_cmp_lt_i32_e64 s11, -1, v22
	v_or_b32_e32 v22, v15, v10
	v_cmp_lt_i32_e64 s22, -1, v11
	v_or_b32_e32 v11, v15, v14
	v_or_b32_e32 v15, v21, v14
	s_and_b32 s8, s56, s10
	v_cmp_lt_i32_e64 s12, -1, v22
	v_or_b32_e32 v22, v16, v10
	v_cmp_lt_i32_e64 s24, -1, v11
	v_or_b32_e32 v11, v16, v14
	s_and_b32 s35, s9, s36
	s_and_b32 s9, s56, s7
	v_cmp_lt_i32_e64 s13, -1, v22
	v_or_b32_e32 v22, v17, v10
	v_cmp_lt_i32_e64 s25, -1, v11
	v_or_b32_e32 v11, v17, v14
	s_and_b32 s56, s17, s20
	s_and_b32 s68, s42, s13
	v_cmp_lt_i32_e64 s14, -1, v22
	v_or_b32_e32 v22, v18, v10
	v_cmp_lt_i32_e64 s30, -1, v11
	v_or_b32_e32 v11, v18, v14
	v_cmp_lt_i32_e64 s41, -1, v15
	s_and_b32 s36, s81, s11
	v_cmp_lt_i32_e64 s15, -1, v22
	v_or_b32_e32 v22, v19, v10
	v_cmp_lt_i32_e64 s33, -1, v11
	v_mul_lo_u32 v11, v13, s58
	v_or_b32_e32 v13, v20, v14
	v_mul_lo_u32 v14, v14, s58
	v_cmp_lt_i32_e64 s16, -1, v22
	v_or_b32_e32 v22, v20, v10
	s_and_b32 s11, s56, vcc_lo
	v_cmp_lt_i32_e64 s40, -1, v13
	s_and_b32 s37, s82, s12
	v_add_nc_u32_e32 v16, v9, v11
	v_cmp_lt_i32_e64 s19, -1, v22
	v_or_b32_e32 v22, v21, v10
	v_mul_lo_u32 v10, v10, s58
	v_add_nc_u32_e32 v17, v7, v11
	v_add_nc_u32_e32 v18, v8, v11
	;; [unrolled: 1-line block ×5, first 2 shown]
	v_mul_lo_u32 v11, v16, s59
	v_mul_lo_u32 v17, v17, s59
	v_add_nc_u32_e32 v23, v9, v10
	v_add_nc_u32_e32 v29, v7, v10
	;; [unrolled: 1-line block ×3, first 2 shown]
	v_mul_lo_u32 v24, v18, s59
	v_mul_lo_u32 v48, v41, s59
	;; [unrolled: 1-line block ×7, first 2 shown]
	v_add_nc_u32_e32 v7, v4, v11
	v_add_nc_u32_e32 v9, v5, v11
	v_add_nc_u32_e32 v11, v6, v11
	v_add_nc_u32_e32 v13, v4, v17
	v_add_nc_u32_e32 v15, v5, v17
	v_add_nc_u32_e32 v17, v6, v17
	v_add_nc_u32_e32 v19, v4, v24
	v_add_nc_u32_e32 v21, v5, v24
	v_add_nc_u32_e32 v23, v6, v24
	v_add_nc_u32_e32 v25, v4, v30
	v_add_nc_u32_e32 v27, v5, v30
	s_and_b32 s12, s56, s10
	v_add_nc_u32_e32 v29, v6, v30
	s_and_b32 s13, s56, s7
	s_and_b32 s56, s68, s34
	;; [unrolled: 1-line block ×3, first 2 shown]
	v_add_nc_u32_e32 v31, v4, v36
	v_add_nc_u32_e32 v33, v5, v36
	;; [unrolled: 1-line block ×15, first 2 shown]
	v_cmp_lt_i32_e64 s18, -1, v22
	s_and_b32 s79, s56, s38
	s_and_b32 s56, s14, s34
	;; [unrolled: 1-line block ×12, first 2 shown]
	v_cmp_lt_i32_e64 s39, -1, v12
	v_ashrrev_i32_e32 v8, 31, v7
	v_ashrrev_i32_e32 v10, 31, v9
	;; [unrolled: 1-line block ×27, first 2 shown]
	s_and_b32 s68, s56, s38
	s_and_b32 s56, s42, s16
	s_and_b32 s19, s17, s29
	s_and_b32 s18, s44, s18
	s_and_b32 s24, s24, s34
	s_and_b32 s25, s27, s23
	s_and_b32 s23, s43, s30
	s_and_b32 s56, s56, s29
	s_and_b32 s74, s19, s38
	s_and_b32 s19, s18, s29
	s_and_b32 s82, s24, s28
	s_and_b32 s24, s23, s34
	s_and_b32 s31, s31, s38
	s_and_b32 s36, s36, s38
	s_and_b32 s37, s37, s38
	s_and_b32 s14, s69, vcc_lo
	s_and_b32 s15, s69, s10
	s_and_b32 s16, s69, s7
	;; [unrolled: 1-line block ×3, first 2 shown]
	s_and_b32 s17, s83, vcc_lo
	s_and_b32 s18, s83, s10
	s_and_b32 s38, s19, s38
	s_and_b32 s19, s83, s7
	s_and_b32 s83, s27, s20
	s_and_b32 s30, s24, s28
	s_and_b32 s24, s44, s33
	v_lshlrev_b64 v[4:5], 3, v[7:8]
	v_lshlrev_b64 v[6:7], 3, v[9:10]
	;; [unrolled: 1-line block ×27, first 2 shown]
	v_mov_b32_e32 v58, 0
	v_mov_b32_e32 v59, 0
	s_and_b32 s20, s83, vcc_lo
	s_and_b32 s56, s21, s28
	s_and_b32 s21, s83, s10
	;; [unrolled: 1-line block ×3, first 2 shown]
	v_mov_b32_e32 v63, v59
	s_and_b32 s22, s83, s7
	s_and_b32 s23, s25, vcc_lo
	s_and_b32 s33, s24, s34
	s_and_b32 s24, s25, s10
	;; [unrolled: 1-line block ×4, first 2 shown]
	s_and_b32 vcc_lo, s26, vcc_lo
	s_and_b32 s10, s26, s10
	s_and_b32 s7, s26, s7
	s_mul_i32 s26, s71, s91
	s_and_b32 s34, s34, s29
	v_mul_lo_u32 v60, s26, v181
	s_and_b32 s27, s34, s28
	s_and_b32 s34, s43, s40
	;; [unrolled: 1-line block ×3, first 2 shown]
	v_mov_b32_e32 v62, v58
	s_and_b32 s34, s34, s29
	s_and_b32 s29, s39, s29
	;; [unrolled: 1-line block ×5, first 2 shown]
	s_mov_b32 s29, s91
	s_branch .LBB15_7
.LBB15_6:                               ;   in Loop: Header=BB15_7 Depth=2
	s_or_b32 exec_lo, exec_lo, s39
	s_waitcnt vmcnt(26)
	v_fma_f64 v[64:65], v[64:65], v[66:67], v[62:63]
	v_add_co_u32 v0, s26, 0xd8, v0
	s_delay_alu instid0(VALU_DEP_1) | instskip(SKIP_2) | instid1(SALU_CYCLE_1)
	v_add_co_ci_u32_e64 v1, s26, 0, v1, s26
	v_add_nc_u32_e32 v60, s71, v60
	s_add_i32 s29, s29, -1
	s_cmp_eq_u32 s29, 0
	s_delay_alu instid0(VALU_DEP_4) | instskip(SKIP_2) | instid1(VALU_DEP_1)
	v_cndmask_b32_e64 v63, v63, v65, s0
	v_cndmask_b32_e64 v62, v62, v64, s0
	s_waitcnt vmcnt(25)
	v_fma_f64 v[64:65], v[68:69], v[72:73], v[62:63]
	s_delay_alu instid0(VALU_DEP_1) | instskip(NEXT) | instid1(VALU_DEP_2)
	v_cndmask_b32_e64 v63, v63, v65, s1
	v_cndmask_b32_e64 v62, v62, v64, s1
	s_waitcnt vmcnt(24)
	s_delay_alu instid0(VALU_DEP_1) | instskip(NEXT) | instid1(VALU_DEP_1)
	v_fma_f64 v[64:65], v[74:75], v[70:71], v[62:63]
	v_cndmask_b32_e64 v63, v63, v65, s2
	s_delay_alu instid0(VALU_DEP_2) | instskip(SKIP_1) | instid1(VALU_DEP_1)
	v_cndmask_b32_e64 v62, v62, v64, s2
	s_waitcnt vmcnt(23)
	v_fma_f64 v[64:65], v[76:77], v[80:81], v[62:63]
	s_delay_alu instid0(VALU_DEP_1) | instskip(NEXT) | instid1(VALU_DEP_2)
	v_cndmask_b32_e64 v63, v63, v65, s3
	v_cndmask_b32_e64 v62, v62, v64, s3
	s_waitcnt vmcnt(22)
	s_delay_alu instid0(VALU_DEP_1) | instskip(NEXT) | instid1(VALU_DEP_1)
	v_fma_f64 v[64:65], v[82:83], v[78:79], v[62:63]
	v_cndmask_b32_e64 v63, v63, v65, s4
	s_delay_alu instid0(VALU_DEP_2) | instskip(SKIP_1) | instid1(VALU_DEP_1)
	;; [unrolled: 11-line block ×11, first 2 shown]
	v_cndmask_b32_e64 v62, v62, v64, s24
	s_waitcnt vmcnt(3)
	v_fma_f64 v[64:65], v[156:157], v[160:161], v[62:63]
	s_delay_alu instid0(VALU_DEP_1) | instskip(NEXT) | instid1(VALU_DEP_2)
	v_cndmask_b32_e64 v63, v63, v65, s25
	v_cndmask_b32_e64 v62, v62, v64, s25
	s_waitcnt vmcnt(2)
	s_delay_alu instid0(VALU_DEP_1) | instskip(NEXT) | instid1(VALU_DEP_1)
	v_fma_f64 v[64:65], v[162:163], v[158:159], v[62:63]
	v_dual_cndmask_b32 v63, v63, v65 :: v_dual_cndmask_b32 v62, v62, v64
	s_waitcnt vmcnt(1)
	s_delay_alu instid0(VALU_DEP_1) | instskip(NEXT) | instid1(VALU_DEP_1)
	v_fma_f64 v[64:65], v[164:165], v[168:169], v[62:63]
	v_cndmask_b32_e64 v63, v63, v65, s10
	s_delay_alu instid0(VALU_DEP_2) | instskip(SKIP_1) | instid1(VALU_DEP_1)
	v_cndmask_b32_e64 v62, v62, v64, s10
	s_waitcnt vmcnt(0)
	v_fma_f64 v[64:65], v[170:171], v[166:167], v[62:63]
	s_delay_alu instid0(VALU_DEP_1) | instskip(NEXT) | instid1(VALU_DEP_2)
	v_cndmask_b32_e64 v63, v63, v65, s7
	v_cndmask_b32_e64 v62, v62, v64, s7
	s_cbranch_scc1 .LBB15_2
.LBB15_7:                               ;   Parent Loop BB15_4 Depth=1
                                        ; =>  This Inner Loop Header: Depth=2
	global_load_b64 v[64:65], v[0:1], off
	v_ashrrev_i32_e32 v61, 31, v60
	s_delay_alu instid0(VALU_DEP_1) | instskip(NEXT) | instid1(VALU_DEP_1)
	v_lshlrev_b64 v[66:67], 3, v[60:61]
	v_add_co_u32 v61, s26, v184, v66
	s_delay_alu instid0(VALU_DEP_1)
	v_add_co_ci_u32_e64 v186, s26, v185, v67, s26
	v_dual_mov_b32 v67, v59 :: v_dual_mov_b32 v66, v58
	s_and_saveexec_b32 s39, s99
	s_cbranch_execz .LBB15_9
; %bb.8:                                ;   in Loop: Header=BB15_7 Depth=2
	v_add_co_u32 v66, s26, v61, v4
	s_delay_alu instid0(VALU_DEP_1)
	v_add_co_ci_u32_e64 v67, s26, v186, v5, s26
	global_load_b64 v[66:67], v[66:67], off
.LBB15_9:                               ;   in Loop: Header=BB15_7 Depth=2
	s_or_b32 exec_lo, exec_lo, s39
	global_load_b64 v[68:69], v[0:1], off offset:8
	v_mov_b32_e32 v70, 0
	v_mov_b32_e32 v71, 0
	s_delay_alu instid0(VALU_DEP_1)
	v_dual_mov_b32 v73, v71 :: v_dual_mov_b32 v72, v70
	s_and_saveexec_b32 s39, s100
	s_cbranch_execz .LBB15_11
; %bb.10:                               ;   in Loop: Header=BB15_7 Depth=2
	v_add_co_u32 v72, s26, v61, v6
	s_delay_alu instid0(VALU_DEP_1)
	v_add_co_ci_u32_e64 v73, s26, v186, v7, s26
	global_load_b64 v[72:73], v[72:73], off
.LBB15_11:                              ;   in Loop: Header=BB15_7 Depth=2
	s_or_b32 exec_lo, exec_lo, s39
	global_load_b64 v[74:75], v[0:1], off offset:16
	s_and_saveexec_b32 s39, s101
	s_cbranch_execz .LBB15_13
; %bb.12:                               ;   in Loop: Header=BB15_7 Depth=2
	v_add_co_u32 v70, s26, v61, v8
	s_delay_alu instid0(VALU_DEP_1)
	v_add_co_ci_u32_e64 v71, s26, v186, v9, s26
	global_load_b64 v[70:71], v[70:71], off
.LBB15_13:                              ;   in Loop: Header=BB15_7 Depth=2
	s_or_b32 exec_lo, exec_lo, s39
	global_load_b64 v[76:77], v[0:1], off offset:24
	v_mov_b32_e32 v78, 0
	v_mov_b32_e32 v79, 0
	s_delay_alu instid0(VALU_DEP_1)
	v_dual_mov_b32 v81, v79 :: v_dual_mov_b32 v80, v78
	s_and_saveexec_b32 s39, s102
	s_cbranch_execz .LBB15_15
; %bb.14:                               ;   in Loop: Header=BB15_7 Depth=2
	v_add_co_u32 v80, s26, v61, v10
	s_delay_alu instid0(VALU_DEP_1)
	v_add_co_ci_u32_e64 v81, s26, v186, v11, s26
	global_load_b64 v[80:81], v[80:81], off
.LBB15_15:                              ;   in Loop: Header=BB15_7 Depth=2
	s_or_b32 exec_lo, exec_lo, s39
	global_load_b64 v[82:83], v[0:1], off offset:32
	s_and_saveexec_b32 s39, s103
	s_cbranch_execz .LBB15_17
; %bb.16:                               ;   in Loop: Header=BB15_7 Depth=2
	v_add_co_u32 v78, s26, v61, v12
	s_delay_alu instid0(VALU_DEP_1)
	v_add_co_ci_u32_e64 v79, s26, v186, v13, s26
	global_load_b64 v[78:79], v[78:79], off
.LBB15_17:                              ;   in Loop: Header=BB15_7 Depth=2
	s_or_b32 exec_lo, exec_lo, s39
	global_load_b64 v[84:85], v[0:1], off offset:40
	v_mov_b32_e32 v86, 0
	v_mov_b32_e32 v87, 0
	s_delay_alu instid0(VALU_DEP_1)
	v_dual_mov_b32 v89, v87 :: v_dual_mov_b32 v88, v86
	s_and_saveexec_b32 s39, s104
	s_cbranch_execz .LBB15_19
; %bb.18:                               ;   in Loop: Header=BB15_7 Depth=2
	v_add_co_u32 v88, s26, v61, v14
	s_delay_alu instid0(VALU_DEP_1)
	v_add_co_ci_u32_e64 v89, s26, v186, v15, s26
	global_load_b64 v[88:89], v[88:89], off
.LBB15_19:                              ;   in Loop: Header=BB15_7 Depth=2
	s_or_b32 exec_lo, exec_lo, s39
	global_load_b64 v[90:91], v[0:1], off offset:48
	s_and_saveexec_b32 s39, vcc_hi
	s_cbranch_execz .LBB15_21
; %bb.20:                               ;   in Loop: Header=BB15_7 Depth=2
	v_add_co_u32 v86, s26, v61, v16
	s_delay_alu instid0(VALU_DEP_1)
	v_add_co_ci_u32_e64 v87, s26, v186, v17, s26
	global_load_b64 v[86:87], v[86:87], off
.LBB15_21:                              ;   in Loop: Header=BB15_7 Depth=2
	s_or_b32 exec_lo, exec_lo, s39
	global_load_b64 v[92:93], v[0:1], off offset:56
	v_mov_b32_e32 v94, 0
	v_mov_b32_e32 v95, 0
	s_delay_alu instid0(VALU_DEP_1)
	v_dual_mov_b32 v97, v95 :: v_dual_mov_b32 v96, v94
	s_and_saveexec_b32 s39, s80
	s_cbranch_execz .LBB15_23
; %bb.22:                               ;   in Loop: Header=BB15_7 Depth=2
	v_add_co_u32 v96, s26, v61, v18
	s_delay_alu instid0(VALU_DEP_1)
	v_add_co_ci_u32_e64 v97, s26, v186, v19, s26
	global_load_b64 v[96:97], v[96:97], off
.LBB15_23:                              ;   in Loop: Header=BB15_7 Depth=2
	s_or_b32 exec_lo, exec_lo, s39
	global_load_b64 v[98:99], v[0:1], off offset:64
	s_and_saveexec_b32 s39, s35
	s_cbranch_execz .LBB15_25
; %bb.24:                               ;   in Loop: Header=BB15_7 Depth=2
	v_add_co_u32 v94, s26, v61, v20
	s_delay_alu instid0(VALU_DEP_1)
	v_add_co_ci_u32_e64 v95, s26, v186, v21, s26
	global_load_b64 v[94:95], v[94:95], off
.LBB15_25:                              ;   in Loop: Header=BB15_7 Depth=2
	s_or_b32 exec_lo, exec_lo, s39
	global_load_b64 v[100:101], v[0:1], off offset:72
	v_mov_b32_e32 v102, 0
	v_mov_b32_e32 v103, 0
	s_delay_alu instid0(VALU_DEP_1)
	v_dual_mov_b32 v105, v103 :: v_dual_mov_b32 v104, v102
	s_and_saveexec_b32 s39, s31
	s_cbranch_execz .LBB15_27
; %bb.26:                               ;   in Loop: Header=BB15_7 Depth=2
	v_add_co_u32 v104, s26, v61, v22
	s_delay_alu instid0(VALU_DEP_1)
	v_add_co_ci_u32_e64 v105, s26, v186, v23, s26
	global_load_b64 v[104:105], v[104:105], off
.LBB15_27:                              ;   in Loop: Header=BB15_7 Depth=2
	s_or_b32 exec_lo, exec_lo, s39
	global_load_b64 v[106:107], v[0:1], off offset:80
	s_and_saveexec_b32 s39, s36
	;; [unrolled: 24-line block ×10, first 2 shown]
	s_cbranch_execz .LBB15_6
; %bb.60:                               ;   in Loop: Header=BB15_7 Depth=2
	v_add_co_u32 v166, s26, v61, v56
	s_delay_alu instid0(VALU_DEP_1)
	v_add_co_ci_u32_e64 v167, s26, v186, v57, s26
	global_load_b64 v[166:167], v[166:167], off
	s_branch .LBB15_6
.LBB15_61:
	s_nop 0
	s_sendmsg sendmsg(MSG_DEALLOC_VGPRS)
	s_endpgm
	.section	.rodata,"a",@progbits
	.p2align	6, 0x0
	.amdhsa_kernel _ZN2at6native12_GLOBAL__N_143conv_depthwise3d_cuda_backward_input_kernelIddLi3ELi3ELi3ELin1ELin1ELin1ELin1ELin1ELin1EEEvN5torch10headeronly6detail27GenericPackedTensorAccessorINS5_14TensorAccessorIN3c108ArrayRefIlEEKT_Lm4ENS4_16DefaultPtrTraitsEiEENS_6detail16IndexBoundsCheckILm5EiEESC_Lm5ESD_iEENS6_INS7_ISA_SB_Lm4ESD_iEESH_SB_Lm5ESD_iEESI_iiiiiiiii
		.amdhsa_group_segment_fixed_size 0
		.amdhsa_private_segment_fixed_size 0
		.amdhsa_kernarg_size 440
		.amdhsa_user_sgpr_count 15
		.amdhsa_user_sgpr_dispatch_ptr 0
		.amdhsa_user_sgpr_queue_ptr 0
		.amdhsa_user_sgpr_kernarg_segment_ptr 1
		.amdhsa_user_sgpr_dispatch_id 0
		.amdhsa_user_sgpr_private_segment_size 0
		.amdhsa_wavefront_size32 1
		.amdhsa_uses_dynamic_stack 0
		.amdhsa_enable_private_segment 0
		.amdhsa_system_sgpr_workgroup_id_x 1
		.amdhsa_system_sgpr_workgroup_id_y 0
		.amdhsa_system_sgpr_workgroup_id_z 0
		.amdhsa_system_sgpr_workgroup_info 0
		.amdhsa_system_vgpr_workitem_id 0
		.amdhsa_next_free_vgpr 188
		.amdhsa_next_free_sgpr 105
		.amdhsa_reserve_vcc 1
		.amdhsa_float_round_mode_32 0
		.amdhsa_float_round_mode_16_64 0
		.amdhsa_float_denorm_mode_32 3
		.amdhsa_float_denorm_mode_16_64 3
		.amdhsa_dx10_clamp 1
		.amdhsa_ieee_mode 1
		.amdhsa_fp16_overflow 0
		.amdhsa_workgroup_processor_mode 1
		.amdhsa_memory_ordered 1
		.amdhsa_forward_progress 0
		.amdhsa_shared_vgpr_count 0
		.amdhsa_exception_fp_ieee_invalid_op 0
		.amdhsa_exception_fp_denorm_src 0
		.amdhsa_exception_fp_ieee_div_zero 0
		.amdhsa_exception_fp_ieee_overflow 0
		.amdhsa_exception_fp_ieee_underflow 0
		.amdhsa_exception_fp_ieee_inexact 0
		.amdhsa_exception_int_div_zero 0
	.end_amdhsa_kernel
	.section	.text._ZN2at6native12_GLOBAL__N_143conv_depthwise3d_cuda_backward_input_kernelIddLi3ELi3ELi3ELin1ELin1ELin1ELin1ELin1ELin1EEEvN5torch10headeronly6detail27GenericPackedTensorAccessorINS5_14TensorAccessorIN3c108ArrayRefIlEEKT_Lm4ENS4_16DefaultPtrTraitsEiEENS_6detail16IndexBoundsCheckILm5EiEESC_Lm5ESD_iEENS6_INS7_ISA_SB_Lm4ESD_iEESH_SB_Lm5ESD_iEESI_iiiiiiiii,"axG",@progbits,_ZN2at6native12_GLOBAL__N_143conv_depthwise3d_cuda_backward_input_kernelIddLi3ELi3ELi3ELin1ELin1ELin1ELin1ELin1ELin1EEEvN5torch10headeronly6detail27GenericPackedTensorAccessorINS5_14TensorAccessorIN3c108ArrayRefIlEEKT_Lm4ENS4_16DefaultPtrTraitsEiEENS_6detail16IndexBoundsCheckILm5EiEESC_Lm5ESD_iEENS6_INS7_ISA_SB_Lm4ESD_iEESH_SB_Lm5ESD_iEESI_iiiiiiiii,comdat
.Lfunc_end15:
	.size	_ZN2at6native12_GLOBAL__N_143conv_depthwise3d_cuda_backward_input_kernelIddLi3ELi3ELi3ELin1ELin1ELin1ELin1ELin1ELin1EEEvN5torch10headeronly6detail27GenericPackedTensorAccessorINS5_14TensorAccessorIN3c108ArrayRefIlEEKT_Lm4ENS4_16DefaultPtrTraitsEiEENS_6detail16IndexBoundsCheckILm5EiEESC_Lm5ESD_iEENS6_INS7_ISA_SB_Lm4ESD_iEESH_SB_Lm5ESD_iEESI_iiiiiiiii, .Lfunc_end15-_ZN2at6native12_GLOBAL__N_143conv_depthwise3d_cuda_backward_input_kernelIddLi3ELi3ELi3ELin1ELin1ELin1ELin1ELin1ELin1EEEvN5torch10headeronly6detail27GenericPackedTensorAccessorINS5_14TensorAccessorIN3c108ArrayRefIlEEKT_Lm4ENS4_16DefaultPtrTraitsEiEENS_6detail16IndexBoundsCheckILm5EiEESC_Lm5ESD_iEENS6_INS7_ISA_SB_Lm4ESD_iEESH_SB_Lm5ESD_iEESI_iiiiiiiii
                                        ; -- End function
	.section	.AMDGPU.csdata,"",@progbits
; Kernel info:
; codeLenInByte = 7032
; NumSgprs: 107
; NumVgprs: 188
; ScratchSize: 0
; MemoryBound: 0
; FloatMode: 240
; IeeeMode: 1
; LDSByteSize: 0 bytes/workgroup (compile time only)
; SGPRBlocks: 13
; VGPRBlocks: 23
; NumSGPRsForWavesPerEU: 107
; NumVGPRsForWavesPerEU: 188
; Occupancy: 8
; WaveLimiterHint : 0
; COMPUTE_PGM_RSRC2:SCRATCH_EN: 0
; COMPUTE_PGM_RSRC2:USER_SGPR: 15
; COMPUTE_PGM_RSRC2:TRAP_HANDLER: 0
; COMPUTE_PGM_RSRC2:TGID_X_EN: 1
; COMPUTE_PGM_RSRC2:TGID_Y_EN: 0
; COMPUTE_PGM_RSRC2:TGID_Z_EN: 0
; COMPUTE_PGM_RSRC2:TIDIG_COMP_CNT: 0
	.section	.text._ZN2at6native12_GLOBAL__N_143conv_depthwise3d_cuda_backward_input_kernelIddLin1ELin1ELin1ELin1ELin1ELin1ELin1ELin1ELin1EEEvN5torch10headeronly6detail27GenericPackedTensorAccessorINS5_14TensorAccessorIN3c108ArrayRefIlEEKT_Lm4ENS4_16DefaultPtrTraitsEiEENS_6detail16IndexBoundsCheckILm5EiEESC_Lm5ESD_iEENS6_INS7_ISA_SB_Lm4ESD_iEESH_SB_Lm5ESD_iEESI_iiiiiiiii,"axG",@progbits,_ZN2at6native12_GLOBAL__N_143conv_depthwise3d_cuda_backward_input_kernelIddLin1ELin1ELin1ELin1ELin1ELin1ELin1ELin1ELin1EEEvN5torch10headeronly6detail27GenericPackedTensorAccessorINS5_14TensorAccessorIN3c108ArrayRefIlEEKT_Lm4ENS4_16DefaultPtrTraitsEiEENS_6detail16IndexBoundsCheckILm5EiEESC_Lm5ESD_iEENS6_INS7_ISA_SB_Lm4ESD_iEESH_SB_Lm5ESD_iEESI_iiiiiiiii,comdat
	.globl	_ZN2at6native12_GLOBAL__N_143conv_depthwise3d_cuda_backward_input_kernelIddLin1ELin1ELin1ELin1ELin1ELin1ELin1ELin1ELin1EEEvN5torch10headeronly6detail27GenericPackedTensorAccessorINS5_14TensorAccessorIN3c108ArrayRefIlEEKT_Lm4ENS4_16DefaultPtrTraitsEiEENS_6detail16IndexBoundsCheckILm5EiEESC_Lm5ESD_iEENS6_INS7_ISA_SB_Lm4ESD_iEESH_SB_Lm5ESD_iEESI_iiiiiiiii ; -- Begin function _ZN2at6native12_GLOBAL__N_143conv_depthwise3d_cuda_backward_input_kernelIddLin1ELin1ELin1ELin1ELin1ELin1ELin1ELin1ELin1EEEvN5torch10headeronly6detail27GenericPackedTensorAccessorINS5_14TensorAccessorIN3c108ArrayRefIlEEKT_Lm4ENS4_16DefaultPtrTraitsEiEENS_6detail16IndexBoundsCheckILm5EiEESC_Lm5ESD_iEENS6_INS7_ISA_SB_Lm4ESD_iEESH_SB_Lm5ESD_iEESI_iiiiiiiii
	.p2align	8
	.type	_ZN2at6native12_GLOBAL__N_143conv_depthwise3d_cuda_backward_input_kernelIddLin1ELin1ELin1ELin1ELin1ELin1ELin1ELin1ELin1EEEvN5torch10headeronly6detail27GenericPackedTensorAccessorINS5_14TensorAccessorIN3c108ArrayRefIlEEKT_Lm4ENS4_16DefaultPtrTraitsEiEENS_6detail16IndexBoundsCheckILm5EiEESC_Lm5ESD_iEENS6_INS7_ISA_SB_Lm4ESD_iEESH_SB_Lm5ESD_iEESI_iiiiiiiii,@function
_ZN2at6native12_GLOBAL__N_143conv_depthwise3d_cuda_backward_input_kernelIddLin1ELin1ELin1ELin1ELin1ELin1ELin1ELin1ELin1EEEvN5torch10headeronly6detail27GenericPackedTensorAccessorINS5_14TensorAccessorIN3c108ArrayRefIlEEKT_Lm4ENS4_16DefaultPtrTraitsEiEENS_6detail16IndexBoundsCheckILm5EiEESC_Lm5ESD_iEENS6_INS7_ISA_SB_Lm4ESD_iEESH_SB_Lm5ESD_iEESI_iiiiiiiii: ; @_ZN2at6native12_GLOBAL__N_143conv_depthwise3d_cuda_backward_input_kernelIddLin1ELin1ELin1ELin1ELin1ELin1ELin1ELin1ELin1EEEvN5torch10headeronly6detail27GenericPackedTensorAccessorINS5_14TensorAccessorIN3c108ArrayRefIlEEKT_Lm4ENS4_16DefaultPtrTraitsEiEENS_6detail16IndexBoundsCheckILm5EiEESC_Lm5ESD_iEENS6_INS7_ISA_SB_Lm4ESD_iEESH_SB_Lm5ESD_iEESI_iiiiiiiii
; %bb.0:
	s_clause 0x2
	s_load_b128 s[16:19], s[0:1], 0x38
	s_load_b32 s4, s[0:1], 0xc4
	s_load_b64 s[6:7], s[0:1], 0x48
	s_mov_b32 s8, exec_lo
	s_waitcnt lgkmcnt(0)
	s_abs_i32 s33, s17
	s_add_u32 s2, s0, 0xb8
	v_cvt_f32_u32_e32 v1, s33
	s_addc_u32 s3, s1, 0
	s_and_b32 s4, s4, 0xffff
	s_mul_i32 s34, s7, s16
	s_delay_alu instid0(SALU_CYCLE_1) | instskip(SKIP_3) | instid1(VALU_DEP_1)
	s_ashr_i32 s35, s34, 31
	v_rcp_iflag_f32_e32 v2, v1
	s_waitcnt_depctr 0xfff
	v_dual_mov_b32 v1, 0 :: v_dual_mul_f32 v4, 0x4f7ffffe, v2
	v_mad_u64_u32 v[2:3], null, s4, s15, v[0:1]
	s_delay_alu instid0(VALU_DEP_2) | instskip(NEXT) | instid1(VALU_DEP_1)
	v_cvt_u32_f32_e32 v0, v4
	v_readfirstlane_b32 s5, v0
	s_delay_alu instid0(VALU_DEP_3)
	v_cmpx_gt_i64_e64 s[34:35], v[2:3]
	s_cbranch_execz .LBB16_18
; %bb.1:
	s_clause 0x1
	s_load_b128 s[20:23], s[0:1], 0xc
	s_load_b64 s[36:37], s[0:1], 0x0
	s_sub_i32 s28, 0, s33
	s_ashr_i32 s16, s17, 31
	s_mul_i32 s24, s28, s5
	s_load_b256 s[8:15], s[0:1], 0x90
	s_mul_hi_u32 s24, s5, s24
	s_load_b32 s2, s[2:3], 0x0
	s_add_i32 s5, s5, s24
	s_load_b128 s[24:27], s[0:1], 0x70
	v_mul_lo_u32 v1, s28, v0
	s_clause 0x1
	s_load_b64 s[38:39], s[0:1], 0x1c
	s_load_b64 s[40:41], s[0:1], 0x30
	s_mov_b32 s44, 0
	s_delay_alu instid0(VALU_DEP_1)
	v_mul_hi_u32 v1, v0, v1
	s_waitcnt lgkmcnt(0)
	s_abs_i32 s29, s20
	s_ashr_i32 s20, s20, 31
	s_mul_hi_u32 s5, s29, s5
	s_xor_b32 s30, s20, s16
	s_mul_i32 s27, s5, s33
	s_load_b32 s20, s[0:1], 0xb0
	s_sub_i32 s27, s29, s27
	s_add_i32 s29, s5, 1
	s_sub_i32 s31, s27, s33
	s_cmp_ge_u32 s27, s33
	s_cselect_b32 s5, s29, s5
	s_cselect_b32 s27, s31, s27
	s_add_i32 s29, s5, 1
	s_cmp_ge_u32 s27, s33
	s_load_b32 s27, s[0:1], 0x7c
	s_cselect_b32 s3, s29, s5
	s_delay_alu instid0(SALU_CYCLE_1) | instskip(NEXT) | instid1(SALU_CYCLE_1)
	s_xor_b32 s3, s3, s30
	s_sub_i32 s45, s3, s30
	s_cmp_gt_i32 s24, 0
	s_clause 0x1
	s_load_b64 s[42:43], s[0:1], 0x60
	s_load_b128 s[28:31], s[0:1], 0x50
	s_cselect_b32 s46, -1, 0
	s_cmp_gt_i32 s25, 0
	s_cselect_b32 s47, -1, 0
	s_cmp_gt_i32 s26, 0
	s_cselect_b32 s48, -1, 0
	s_abs_i32 s49, s6
	s_abs_i32 s50, s19
	v_cvt_f32_u32_e32 v4, s49
	v_cvt_f32_u32_e32 v5, s50
	s_abs_i32 s51, s18
	s_abs_i32 s52, s8
	;; [unrolled: 1-line block ×3, first 2 shown]
	v_rcp_iflag_f32_e32 v4, v4
	s_abs_i32 s54, s10
	v_cvt_f32_u32_e32 v6, s51
	v_cvt_f32_u32_e32 v7, s52
	;; [unrolled: 1-line block ×4, first 2 shown]
	v_rcp_iflag_f32_e32 v5, v5
	v_rcp_iflag_f32_e32 v6, v6
	;; [unrolled: 1-line block ×5, first 2 shown]
	v_mul_f32_e32 v4, 0x4f7ffffe, v4
	s_sub_i32 s0, 0, s49
	s_sub_i32 s1, 0, s50
	;; [unrolled: 1-line block ×4, first 2 shown]
	v_mul_f32_e32 v5, 0x4f7ffffe, v5
	v_cvt_u32_f32_e32 v4, v4
	v_dual_mul_f32 v6, 0x4f7ffffe, v6 :: v_dual_mul_f32 v7, 0x4f7ffffe, v7
	s_waitcnt_depctr 0xfff
	v_dual_mul_f32 v8, 0x4f7ffffe, v8 :: v_dual_mul_f32 v9, 0x4f7ffffe, v9
	v_mul_lo_u32 v10, s0, v4
	v_cvt_u32_f32_e32 v5, v5
	v_cvt_u32_f32_e32 v6, v6
	;; [unrolled: 1-line block ×5, first 2 shown]
	s_sub_i32 s55, 0, s53
	s_sub_i32 s56, 0, s54
	v_mul_lo_u32 v11, s1, v5
	v_mul_lo_u32 v12, s3, v6
	;; [unrolled: 1-line block ×4, first 2 shown]
	v_mul_hi_u32 v10, v4, v10
	v_mul_lo_u32 v15, s56, v9
	s_mul_i32 s55, s2, s4
	s_ashr_i32 s56, s6, 31
	v_mul_hi_u32 v11, v5, v11
	v_mul_hi_u32 v12, v6, v12
	v_mul_hi_u32 v16, v7, v13
	v_mul_hi_u32 v17, v8, v14
	v_add_nc_u32_e32 v10, v4, v10
	v_mul_hi_u32 v4, v9, v15
	v_add_nc_u32_e32 v13, v0, v1
	s_ashr_i32 s57, s19, 31
	v_add_nc_u32_e32 v11, v5, v11
	v_add_nc_u32_e32 v12, v6, v12
	;; [unrolled: 1-line block ×4, first 2 shown]
	s_ashr_i32 s58, s18, 31
	v_add_nc_u32_e32 v16, v9, v4
	s_ashr_i32 s59, s8, 31
	s_ashr_i32 s60, s9, 31
	;; [unrolled: 1-line block ×3, first 2 shown]
	s_branch .LBB16_4
.LBB16_2:                               ;   in Loop: Header=BB16_4 Depth=1
	s_or_b32 exec_lo, exec_lo, s63
.LBB16_3:                               ;   in Loop: Header=BB16_4 Depth=1
	s_delay_alu instid0(SALU_CYCLE_1)
	s_or_b32 exec_lo, exec_lo, s62
	v_mul_lo_u32 v4, v21, s7
	s_waitcnt lgkmcnt(0)
	v_mul_lo_u32 v6, s28, v19
	v_mul_lo_u32 v8, s29, v20
	;; [unrolled: 1-line block ×3, first 2 shown]
	v_add_co_u32 v2, vcc_lo, v2, s55
	v_add_co_ci_u32_e32 v3, vcc_lo, 0, v3, vcc_lo
	v_ashrrev_i32_e32 v5, 31, v4
	v_ashrrev_i32_e32 v7, 31, v6
	v_ashrrev_i32_e32 v9, 31, v8
	v_mul_lo_u32 v20, s31, v17
	v_ashrrev_i32_e32 v19, 31, v18
	v_lshlrev_b64 v[4:5], 3, v[4:5]
	v_lshlrev_b64 v[6:7], 3, v[6:7]
	s_delay_alu instid0(VALU_DEP_4) | instskip(NEXT) | instid1(VALU_DEP_3)
	v_ashrrev_i32_e32 v21, 31, v20
	v_add_co_u32 v17, vcc_lo, s40, v4
	s_delay_alu instid0(VALU_DEP_4) | instskip(SKIP_1) | instid1(VALU_DEP_3)
	v_add_co_ci_u32_e32 v22, vcc_lo, s41, v5, vcc_lo
	v_lshlrev_b64 v[4:5], 3, v[8:9]
	v_add_co_u32 v8, vcc_lo, v17, v6
	s_delay_alu instid0(VALU_DEP_3) | instskip(SKIP_1) | instid1(VALU_DEP_3)
	v_add_co_ci_u32_e32 v9, vcc_lo, v22, v7, vcc_lo
	v_lshlrev_b64 v[6:7], 3, v[18:19]
	v_add_co_u32 v8, vcc_lo, v8, v4
	s_delay_alu instid0(VALU_DEP_3) | instskip(SKIP_1) | instid1(VALU_DEP_3)
	;; [unrolled: 4-line block ×3, first 2 shown]
	v_add_co_ci_u32_e32 v7, vcc_lo, v9, v7, vcc_lo
	v_cmp_le_i64_e32 vcc_lo, s[34:35], v[2:3]
	v_add_co_u32 v4, s0, v6, v4
	s_delay_alu instid0(VALU_DEP_1)
	v_add_co_ci_u32_e64 v5, s0, v7, v5, s0
	s_or_b32 s44, vcc_lo, s44
	global_store_b64 v[4:5], v[0:1], off
	s_and_not1_b32 exec_lo, exec_lo, s44
	s_cbranch_execz .LBB16_18
.LBB16_4:                               ; =>This Loop Header: Depth=1
                                        ;     Child Loop BB16_7 Depth 2
                                        ;       Child Loop BB16_10 Depth 3
                                        ;         Child Loop BB16_13 Depth 4
                                        ;           Child Loop BB16_16 Depth 5
	v_sub_nc_u32_e32 v0, 0, v2
	s_mov_b32 s62, exec_lo
	s_delay_alu instid0(VALU_DEP_1) | instskip(NEXT) | instid1(VALU_DEP_1)
	v_max_i32_e32 v0, v2, v0
	v_mul_hi_u32 v1, v0, v10
	s_delay_alu instid0(VALU_DEP_1) | instskip(NEXT) | instid1(VALU_DEP_1)
	v_mul_lo_u32 v4, v1, s49
	v_sub_nc_u32_e32 v0, v0, v4
	v_add_nc_u32_e32 v4, 1, v1
	s_delay_alu instid0(VALU_DEP_2) | instskip(SKIP_1) | instid1(VALU_DEP_2)
	v_subrev_nc_u32_e32 v5, s49, v0
	v_cmp_le_u32_e32 vcc_lo, s49, v0
	v_dual_cndmask_b32 v1, v1, v4 :: v_dual_cndmask_b32 v0, v0, v5
	v_ashrrev_i32_e32 v4, 31, v2
	s_delay_alu instid0(VALU_DEP_2) | instskip(NEXT) | instid1(VALU_DEP_3)
	v_add_nc_u32_e32 v5, 1, v1
	v_cmp_le_u32_e32 vcc_lo, s49, v0
	s_delay_alu instid0(VALU_DEP_3) | instskip(NEXT) | instid1(VALU_DEP_3)
	v_xor_b32_e32 v4, s56, v4
	v_cndmask_b32_e32 v0, v1, v5, vcc_lo
	s_delay_alu instid0(VALU_DEP_1) | instskip(NEXT) | instid1(VALU_DEP_1)
	v_xor_b32_e32 v0, v0, v4
	v_sub_nc_u32_e32 v0, v0, v4
	s_delay_alu instid0(VALU_DEP_1) | instskip(NEXT) | instid1(VALU_DEP_1)
	v_sub_nc_u32_e32 v1, 0, v0
	v_max_i32_e32 v1, v0, v1
	s_delay_alu instid0(VALU_DEP_1) | instskip(NEXT) | instid1(VALU_DEP_1)
	v_mul_hi_u32 v4, v1, v11
	v_mul_lo_u32 v5, v4, s50
	s_delay_alu instid0(VALU_DEP_1) | instskip(SKIP_1) | instid1(VALU_DEP_2)
	v_sub_nc_u32_e32 v1, v1, v5
	v_add_nc_u32_e32 v5, 1, v4
	v_subrev_nc_u32_e32 v6, s50, v1
	v_cmp_le_u32_e32 vcc_lo, s50, v1
	s_delay_alu instid0(VALU_DEP_2) | instskip(SKIP_1) | instid1(VALU_DEP_2)
	v_dual_cndmask_b32 v4, v4, v5 :: v_dual_cndmask_b32 v1, v1, v6
	v_ashrrev_i32_e32 v5, 31, v0
	v_add_nc_u32_e32 v6, 1, v4
	s_delay_alu instid0(VALU_DEP_3) | instskip(NEXT) | instid1(VALU_DEP_3)
	v_cmp_le_u32_e32 vcc_lo, s50, v1
	v_xor_b32_e32 v5, s57, v5
	s_delay_alu instid0(VALU_DEP_3) | instskip(NEXT) | instid1(VALU_DEP_1)
	v_cndmask_b32_e32 v1, v4, v6, vcc_lo
	v_xor_b32_e32 v1, v1, v5
	s_delay_alu instid0(VALU_DEP_1) | instskip(NEXT) | instid1(VALU_DEP_1)
	v_sub_nc_u32_e32 v1, v1, v5
	v_sub_nc_u32_e32 v4, 0, v1
	s_delay_alu instid0(VALU_DEP_1) | instskip(NEXT) | instid1(VALU_DEP_1)
	v_max_i32_e32 v4, v1, v4
	v_mul_hi_u32 v5, v4, v12
	s_delay_alu instid0(VALU_DEP_1) | instskip(NEXT) | instid1(VALU_DEP_1)
	v_mul_lo_u32 v6, v5, s51
	v_sub_nc_u32_e32 v4, v4, v6
	v_add_nc_u32_e32 v6, 1, v5
	s_delay_alu instid0(VALU_DEP_2) | instskip(SKIP_1) | instid1(VALU_DEP_2)
	v_subrev_nc_u32_e32 v7, s51, v4
	v_cmp_le_u32_e32 vcc_lo, s51, v4
	v_dual_cndmask_b32 v5, v5, v6 :: v_dual_cndmask_b32 v4, v4, v7
	v_ashrrev_i32_e32 v6, 31, v1
	s_delay_alu instid0(VALU_DEP_2) | instskip(NEXT) | instid1(VALU_DEP_3)
	v_add_nc_u32_e32 v7, 1, v5
	v_cmp_le_u32_e32 vcc_lo, s51, v4
	s_delay_alu instid0(VALU_DEP_3) | instskip(NEXT) | instid1(VALU_DEP_3)
	v_xor_b32_e32 v6, s58, v6
	v_cndmask_b32_e32 v4, v5, v7, vcc_lo
	s_delay_alu instid0(VALU_DEP_1) | instskip(NEXT) | instid1(VALU_DEP_1)
	v_xor_b32_e32 v4, v4, v6
	v_sub_nc_u32_e32 v4, v4, v6
	s_delay_alu instid0(VALU_DEP_1) | instskip(NEXT) | instid1(VALU_DEP_1)
	v_sub_nc_u32_e32 v5, 0, v4
	v_max_i32_e32 v5, v4, v5
	s_delay_alu instid0(VALU_DEP_1) | instskip(NEXT) | instid1(VALU_DEP_1)
	v_mul_hi_u32 v6, v5, v13
	v_mul_lo_u32 v7, v6, s33
	s_delay_alu instid0(VALU_DEP_1) | instskip(SKIP_1) | instid1(VALU_DEP_2)
	v_sub_nc_u32_e32 v5, v5, v7
	v_add_nc_u32_e32 v7, 1, v6
	v_subrev_nc_u32_e32 v8, s33, v5
	v_cmp_le_u32_e32 vcc_lo, s33, v5
	s_delay_alu instid0(VALU_DEP_2) | instskip(SKIP_1) | instid1(VALU_DEP_2)
	v_dual_cndmask_b32 v6, v6, v7 :: v_dual_cndmask_b32 v5, v5, v8
	v_ashrrev_i32_e32 v7, 31, v4
	v_add_nc_u32_e32 v8, 1, v6
	s_delay_alu instid0(VALU_DEP_3) | instskip(NEXT) | instid1(VALU_DEP_3)
	v_cmp_le_u32_e32 vcc_lo, s33, v5
	v_xor_b32_e32 v7, s16, v7
	s_delay_alu instid0(VALU_DEP_3) | instskip(SKIP_1) | instid1(VALU_DEP_2)
	v_cndmask_b32_e32 v5, v6, v8, vcc_lo
	v_mul_lo_u32 v6, v1, s19
	v_xor_b32_e32 v5, v5, v7
	s_delay_alu instid0(VALU_DEP_2) | instskip(NEXT) | instid1(VALU_DEP_2)
	v_sub_nc_u32_e32 v18, v0, v6
	v_sub_nc_u32_e32 v21, v5, v7
	s_delay_alu instid0(VALU_DEP_1) | instskip(NEXT) | instid1(VALU_DEP_1)
	v_mul_lo_u32 v5, v21, s17
	v_sub_nc_u32_e32 v19, v4, v5
	v_mul_lo_u32 v4, v4, s18
	v_mul_lo_u32 v5, v0, s6
	s_delay_alu instid0(VALU_DEP_3) | instskip(NEXT) | instid1(VALU_DEP_3)
	v_mul_lo_u32 v22, v19, s45
	v_sub_nc_u32_e32 v20, v1, v4
	v_mov_b32_e32 v0, 0
	s_delay_alu instid0(VALU_DEP_4) | instskip(SKIP_2) | instid1(VALU_DEP_1)
	v_sub_nc_u32_e32 v17, v2, v5
	v_mov_b32_e32 v1, 0
	v_add_nc_u32_e32 v23, s45, v22
	v_cmpx_lt_i32_e64 v22, v23
	s_cbranch_execz .LBB16_3
; %bb.5:                                ;   in Loop: Header=BB16_4 Depth=1
	s_waitcnt lgkmcnt(0)
	v_mul_lo_u32 v0, s27, v22
	v_mul_lo_u32 v4, s38, v21
	v_add_nc_u32_e32 v25, s12, v18
	v_add_nc_u32_e32 v24, s13, v17
	;; [unrolled: 1-line block ×3, first 2 shown]
	s_mov_b32 s63, 0
	v_ashrrev_i32_e32 v1, 31, v0
	v_ashrrev_i32_e32 v5, 31, v4
	s_delay_alu instid0(VALU_DEP_2) | instskip(NEXT) | instid1(VALU_DEP_2)
	v_lshlrev_b64 v[6:7], 3, v[0:1]
	v_lshlrev_b64 v[8:9], 3, v[4:5]
	v_mov_b32_e32 v0, 0
	v_mov_b32_e32 v1, 0
	s_delay_alu instid0(VALU_DEP_4)
	v_add_co_u32 v4, vcc_lo, s42, v6
	v_add_co_ci_u32_e32 v5, vcc_lo, s43, v7, vcc_lo
	v_add_co_u32 v27, vcc_lo, s36, v8
	v_add_co_ci_u32_e32 v28, vcc_lo, s37, v9, vcc_lo
	s_branch .LBB16_7
.LBB16_6:                               ;   in Loop: Header=BB16_7 Depth=2
	v_add_nc_u32_e32 v22, 1, v22
	s_delay_alu instid0(VALU_DEP_1) | instskip(SKIP_1) | instid1(SALU_CYCLE_1)
	v_cmp_eq_u32_e32 vcc_lo, v22, v23
	s_or_b32 s63, vcc_lo, s63
	s_and_not1_b32 exec_lo, exec_lo, s63
	s_cbranch_execz .LBB16_2
.LBB16_7:                               ;   Parent Loop BB16_4 Depth=1
                                        ; =>  This Loop Header: Depth=2
                                        ;       Child Loop BB16_10 Depth 3
                                        ;         Child Loop BB16_13 Depth 4
                                        ;           Child Loop BB16_16 Depth 5
	s_and_not1_b32 vcc_lo, exec_lo, s46
	s_cbranch_vccnz .LBB16_6
; %bb.8:                                ;   in Loop: Header=BB16_7 Depth=2
	v_mul_lo_u32 v6, s39, v22
	s_mov_b32 s64, 0
	s_delay_alu instid0(VALU_DEP_1) | instskip(NEXT) | instid1(VALU_DEP_1)
	v_ashrrev_i32_e32 v7, 31, v6
	v_lshlrev_b64 v[6:7], 3, v[6:7]
	s_delay_alu instid0(VALU_DEP_1) | instskip(NEXT) | instid1(VALU_DEP_2)
	v_add_co_u32 v29, vcc_lo, v27, v6
	v_add_co_ci_u32_e32 v30, vcc_lo, v28, v7, vcc_lo
	s_branch .LBB16_10
.LBB16_9:                               ;   in Loop: Header=BB16_10 Depth=3
	s_add_i32 s64, s64, 1
	s_delay_alu instid0(SALU_CYCLE_1)
	s_cmp_eq_u32 s64, s24
	s_cbranch_scc1 .LBB16_6
.LBB16_10:                              ;   Parent Loop BB16_4 Depth=1
                                        ;     Parent Loop BB16_7 Depth=2
                                        ; =>    This Loop Header: Depth=3
                                        ;         Child Loop BB16_13 Depth 4
                                        ;           Child Loop BB16_16 Depth 5
	s_and_not1_b32 vcc_lo, exec_lo, s47
	s_cbranch_vccnz .LBB16_9
; %bb.11:                               ;   in Loop: Header=BB16_10 Depth=3
	s_mul_i32 s0, s64, s14
	s_mov_b32 s65, 0
	v_subrev_nc_u32_e32 v6, s0, v26
	s_delay_alu instid0(VALU_DEP_1) | instskip(NEXT) | instid1(VALU_DEP_1)
	v_sub_nc_u32_e32 v7, 0, v6
	v_max_i32_e32 v7, v6, v7
	s_delay_alu instid0(VALU_DEP_1) | instskip(NEXT) | instid1(VALU_DEP_1)
	v_mul_hi_u32 v8, v7, v14
	v_mul_lo_u32 v9, v8, s52
	s_delay_alu instid0(VALU_DEP_1) | instskip(SKIP_1) | instid1(VALU_DEP_2)
	v_sub_nc_u32_e32 v7, v7, v9
	v_add_nc_u32_e32 v9, 1, v8
	v_subrev_nc_u32_e32 v31, s52, v7
	v_cmp_le_u32_e32 vcc_lo, s52, v7
	s_delay_alu instid0(VALU_DEP_2) | instskip(SKIP_1) | instid1(VALU_DEP_2)
	v_dual_cndmask_b32 v8, v8, v9 :: v_dual_cndmask_b32 v7, v7, v31
	v_ashrrev_i32_e32 v9, 31, v6
	v_add_nc_u32_e32 v31, 1, v8
	s_delay_alu instid0(VALU_DEP_3) | instskip(NEXT) | instid1(VALU_DEP_3)
	v_cmp_le_u32_e32 vcc_lo, s52, v7
	v_xor_b32_e32 v9, s59, v9
	s_delay_alu instid0(VALU_DEP_3) | instskip(NEXT) | instid1(VALU_DEP_1)
	v_cndmask_b32_e32 v7, v8, v31, vcc_lo
	v_xor_b32_e32 v7, v7, v9
	s_delay_alu instid0(VALU_DEP_1) | instskip(NEXT) | instid1(VALU_DEP_1)
	v_sub_nc_u32_e32 v7, v7, v9
	v_mul_lo_u32 v8, v7, s8
	v_mul_lo_u32 v31, v7, s22
	v_cmp_lt_i32_e64 s0, -1, v7
	v_cmp_gt_i32_e64 s1, s21, v7
	s_delay_alu instid0(VALU_DEP_4)
	v_cmp_eq_u32_e64 s2, v8, v6
	s_branch .LBB16_13
.LBB16_12:                              ;   in Loop: Header=BB16_13 Depth=4
	s_add_i32 s65, s65, 1
	s_delay_alu instid0(SALU_CYCLE_1)
	s_cmp_eq_u32 s65, s25
	s_cbranch_scc1 .LBB16_9
.LBB16_13:                              ;   Parent Loop BB16_4 Depth=1
                                        ;     Parent Loop BB16_7 Depth=2
                                        ;       Parent Loop BB16_10 Depth=3
                                        ; =>      This Loop Header: Depth=4
                                        ;           Child Loop BB16_16 Depth 5
	s_and_not1_b32 vcc_lo, exec_lo, s48
	s_cbranch_vccnz .LBB16_12
; %bb.14:                               ;   in Loop: Header=BB16_13 Depth=4
	s_mul_i32 s3, s65, s15
	s_mov_b32 s67, s26
	v_subrev_nc_u32_e32 v6, s3, v25
	v_mov_b32_e32 v33, v24
	s_delay_alu instid0(VALU_DEP_2) | instskip(NEXT) | instid1(VALU_DEP_1)
	v_sub_nc_u32_e32 v7, 0, v6
	v_max_i32_e32 v7, v6, v7
	s_delay_alu instid0(VALU_DEP_1) | instskip(NEXT) | instid1(VALU_DEP_1)
	v_mul_hi_u32 v8, v7, v15
	v_mul_lo_u32 v9, v8, s53
	s_delay_alu instid0(VALU_DEP_1) | instskip(SKIP_1) | instid1(VALU_DEP_2)
	v_sub_nc_u32_e32 v7, v7, v9
	v_add_nc_u32_e32 v9, 1, v8
	v_subrev_nc_u32_e32 v32, s53, v7
	v_cmp_le_u32_e32 vcc_lo, s53, v7
	s_delay_alu instid0(VALU_DEP_2) | instskip(SKIP_1) | instid1(VALU_DEP_2)
	v_dual_cndmask_b32 v8, v8, v9 :: v_dual_cndmask_b32 v7, v7, v32
	v_ashrrev_i32_e32 v9, 31, v6
	v_add_nc_u32_e32 v32, 1, v8
	s_delay_alu instid0(VALU_DEP_3) | instskip(NEXT) | instid1(VALU_DEP_3)
	v_cmp_le_u32_e32 vcc_lo, s53, v7
	v_xor_b32_e32 v9, s60, v9
	s_delay_alu instid0(VALU_DEP_3) | instskip(NEXT) | instid1(VALU_DEP_1)
	v_cndmask_b32_e32 v7, v8, v32, vcc_lo
	v_xor_b32_e32 v7, v7, v9
	s_delay_alu instid0(VALU_DEP_1) | instskip(NEXT) | instid1(VALU_DEP_1)
	v_sub_nc_u32_e32 v7, v7, v9
	v_mul_lo_u32 v8, v7, s9
	v_add_nc_u32_e32 v9, v7, v31
	v_cmp_lt_i32_e32 vcc_lo, -1, v7
	v_cmp_gt_i32_e64 s3, s22, v7
	s_delay_alu instid0(VALU_DEP_3) | instskip(SKIP_1) | instid1(VALU_DEP_1)
	v_mul_lo_u32 v32, v9, s23
	v_cmp_eq_u32_e64 s4, v8, v6
	s_and_b32 s66, s2, s4
	s_branch .LBB16_16
.LBB16_15:                              ;   in Loop: Header=BB16_16 Depth=5
	s_or_b32 exec_lo, exec_lo, s5
	s_waitcnt vmcnt(0)
	v_fma_f64 v[6:7], v[6:7], v[8:9], v[0:1]
	v_mul_lo_u32 v8, v34, s10
	v_add_co_u32 v4, s5, v4, 8
	s_delay_alu instid0(VALU_DEP_1) | instskip(SKIP_1) | instid1(VALU_DEP_3)
	v_add_co_ci_u32_e64 v5, s5, 0, v5, s5
	s_add_i32 s67, s67, -1
	v_cmp_eq_u32_e64 s4, v33, v8
	v_subrev_nc_u32_e32 v33, s20, v33
	s_delay_alu instid0(VALU_DEP_2)
	s_and_b32 s4, s66, s4
	s_cmp_eq_u32 s67, 0
	v_cndmask_b32_e64 v1, v1, v7, s4
	v_cndmask_b32_e64 v0, v0, v6, s4
	s_cbranch_scc1 .LBB16_12
.LBB16_16:                              ;   Parent Loop BB16_4 Depth=1
                                        ;     Parent Loop BB16_7 Depth=2
                                        ;       Parent Loop BB16_10 Depth=3
                                        ;         Parent Loop BB16_13 Depth=4
                                        ; =>        This Inner Loop Header: Depth=5
	global_load_b64 v[6:7], v[4:5], off
	v_sub_nc_u32_e32 v8, 0, v33
	s_delay_alu instid0(VALU_DEP_1) | instskip(NEXT) | instid1(VALU_DEP_1)
	v_max_i32_e32 v8, v33, v8
	v_mul_hi_u32 v9, v8, v16
	s_delay_alu instid0(VALU_DEP_1) | instskip(NEXT) | instid1(VALU_DEP_1)
	v_mul_lo_u32 v34, v9, s54
	v_sub_nc_u32_e32 v8, v8, v34
	v_add_nc_u32_e32 v34, 1, v9
	s_delay_alu instid0(VALU_DEP_2) | instskip(SKIP_1) | instid1(VALU_DEP_1)
	v_subrev_nc_u32_e32 v35, s54, v8
	v_cmp_le_u32_e64 s4, s54, v8
	v_cndmask_b32_e64 v9, v9, v34, s4
	s_delay_alu instid0(VALU_DEP_3) | instskip(SKIP_1) | instid1(VALU_DEP_3)
	v_cndmask_b32_e64 v8, v8, v35, s4
	v_ashrrev_i32_e32 v34, 31, v33
	v_add_nc_u32_e32 v35, 1, v9
	s_delay_alu instid0(VALU_DEP_3) | instskip(NEXT) | instid1(VALU_DEP_3)
	v_cmp_le_u32_e64 s4, s54, v8
	v_xor_b32_e32 v34, s61, v34
	s_delay_alu instid0(VALU_DEP_2) | instskip(NEXT) | instid1(VALU_DEP_1)
	v_cndmask_b32_e64 v8, v9, v35, s4
	v_xor_b32_e32 v8, v8, v34
	s_delay_alu instid0(VALU_DEP_1) | instskip(SKIP_2) | instid1(VALU_DEP_3)
	v_sub_nc_u32_e32 v34, v8, v34
	v_mov_b32_e32 v8, 0
	v_mov_b32_e32 v9, 0
	v_cmp_lt_i32_e64 s4, -1, v34
	v_cmp_gt_i32_e64 s5, s23, v34
	s_delay_alu instid0(VALU_DEP_2) | instskip(NEXT) | instid1(SALU_CYCLE_1)
	s_and_b32 s4, s4, vcc_lo
	s_and_b32 s4, s4, s0
	s_delay_alu instid0(VALU_DEP_1) | instid1(SALU_CYCLE_1)
	s_and_b32 s4, s5, s4
	s_delay_alu instid0(SALU_CYCLE_1) | instskip(NEXT) | instid1(SALU_CYCLE_1)
	s_and_b32 s4, s4, s3
	s_and_b32 s4, s4, s1
	s_delay_alu instid0(SALU_CYCLE_1)
	s_and_saveexec_b32 s5, s4
	s_cbranch_execz .LBB16_15
; %bb.17:                               ;   in Loop: Header=BB16_16 Depth=5
	v_add_nc_u32_e32 v8, v34, v32
	s_delay_alu instid0(VALU_DEP_1) | instskip(NEXT) | instid1(VALU_DEP_1)
	v_ashrrev_i32_e32 v9, 31, v8
	v_lshlrev_b64 v[8:9], 3, v[8:9]
	s_delay_alu instid0(VALU_DEP_1) | instskip(NEXT) | instid1(VALU_DEP_1)
	v_add_co_u32 v8, s4, v29, v8
	v_add_co_ci_u32_e64 v9, s4, v30, v9, s4
	global_load_b64 v[8:9], v[8:9], off
	s_branch .LBB16_15
.LBB16_18:
	s_nop 0
	s_sendmsg sendmsg(MSG_DEALLOC_VGPRS)
	s_endpgm
	.section	.rodata,"a",@progbits
	.p2align	6, 0x0
	.amdhsa_kernel _ZN2at6native12_GLOBAL__N_143conv_depthwise3d_cuda_backward_input_kernelIddLin1ELin1ELin1ELin1ELin1ELin1ELin1ELin1ELin1EEEvN5torch10headeronly6detail27GenericPackedTensorAccessorINS5_14TensorAccessorIN3c108ArrayRefIlEEKT_Lm4ENS4_16DefaultPtrTraitsEiEENS_6detail16IndexBoundsCheckILm5EiEESC_Lm5ESD_iEENS6_INS7_ISA_SB_Lm4ESD_iEESH_SB_Lm5ESD_iEESI_iiiiiiiii
		.amdhsa_group_segment_fixed_size 0
		.amdhsa_private_segment_fixed_size 0
		.amdhsa_kernarg_size 440
		.amdhsa_user_sgpr_count 15
		.amdhsa_user_sgpr_dispatch_ptr 0
		.amdhsa_user_sgpr_queue_ptr 0
		.amdhsa_user_sgpr_kernarg_segment_ptr 1
		.amdhsa_user_sgpr_dispatch_id 0
		.amdhsa_user_sgpr_private_segment_size 0
		.amdhsa_wavefront_size32 1
		.amdhsa_uses_dynamic_stack 0
		.amdhsa_enable_private_segment 0
		.amdhsa_system_sgpr_workgroup_id_x 1
		.amdhsa_system_sgpr_workgroup_id_y 0
		.amdhsa_system_sgpr_workgroup_id_z 0
		.amdhsa_system_sgpr_workgroup_info 0
		.amdhsa_system_vgpr_workitem_id 0
		.amdhsa_next_free_vgpr 36
		.amdhsa_next_free_sgpr 68
		.amdhsa_reserve_vcc 1
		.amdhsa_float_round_mode_32 0
		.amdhsa_float_round_mode_16_64 0
		.amdhsa_float_denorm_mode_32 3
		.amdhsa_float_denorm_mode_16_64 3
		.amdhsa_dx10_clamp 1
		.amdhsa_ieee_mode 1
		.amdhsa_fp16_overflow 0
		.amdhsa_workgroup_processor_mode 1
		.amdhsa_memory_ordered 1
		.amdhsa_forward_progress 0
		.amdhsa_shared_vgpr_count 0
		.amdhsa_exception_fp_ieee_invalid_op 0
		.amdhsa_exception_fp_denorm_src 0
		.amdhsa_exception_fp_ieee_div_zero 0
		.amdhsa_exception_fp_ieee_overflow 0
		.amdhsa_exception_fp_ieee_underflow 0
		.amdhsa_exception_fp_ieee_inexact 0
		.amdhsa_exception_int_div_zero 0
	.end_amdhsa_kernel
	.section	.text._ZN2at6native12_GLOBAL__N_143conv_depthwise3d_cuda_backward_input_kernelIddLin1ELin1ELin1ELin1ELin1ELin1ELin1ELin1ELin1EEEvN5torch10headeronly6detail27GenericPackedTensorAccessorINS5_14TensorAccessorIN3c108ArrayRefIlEEKT_Lm4ENS4_16DefaultPtrTraitsEiEENS_6detail16IndexBoundsCheckILm5EiEESC_Lm5ESD_iEENS6_INS7_ISA_SB_Lm4ESD_iEESH_SB_Lm5ESD_iEESI_iiiiiiiii,"axG",@progbits,_ZN2at6native12_GLOBAL__N_143conv_depthwise3d_cuda_backward_input_kernelIddLin1ELin1ELin1ELin1ELin1ELin1ELin1ELin1ELin1EEEvN5torch10headeronly6detail27GenericPackedTensorAccessorINS5_14TensorAccessorIN3c108ArrayRefIlEEKT_Lm4ENS4_16DefaultPtrTraitsEiEENS_6detail16IndexBoundsCheckILm5EiEESC_Lm5ESD_iEENS6_INS7_ISA_SB_Lm4ESD_iEESH_SB_Lm5ESD_iEESI_iiiiiiiii,comdat
.Lfunc_end16:
	.size	_ZN2at6native12_GLOBAL__N_143conv_depthwise3d_cuda_backward_input_kernelIddLin1ELin1ELin1ELin1ELin1ELin1ELin1ELin1ELin1EEEvN5torch10headeronly6detail27GenericPackedTensorAccessorINS5_14TensorAccessorIN3c108ArrayRefIlEEKT_Lm4ENS4_16DefaultPtrTraitsEiEENS_6detail16IndexBoundsCheckILm5EiEESC_Lm5ESD_iEENS6_INS7_ISA_SB_Lm4ESD_iEESH_SB_Lm5ESD_iEESI_iiiiiiiii, .Lfunc_end16-_ZN2at6native12_GLOBAL__N_143conv_depthwise3d_cuda_backward_input_kernelIddLin1ELin1ELin1ELin1ELin1ELin1ELin1ELin1ELin1EEEvN5torch10headeronly6detail27GenericPackedTensorAccessorINS5_14TensorAccessorIN3c108ArrayRefIlEEKT_Lm4ENS4_16DefaultPtrTraitsEiEENS_6detail16IndexBoundsCheckILm5EiEESC_Lm5ESD_iEENS6_INS7_ISA_SB_Lm4ESD_iEESH_SB_Lm5ESD_iEESI_iiiiiiiii
                                        ; -- End function
	.section	.AMDGPU.csdata,"",@progbits
; Kernel info:
; codeLenInByte = 2360
; NumSgprs: 70
; NumVgprs: 36
; ScratchSize: 0
; MemoryBound: 0
; FloatMode: 240
; IeeeMode: 1
; LDSByteSize: 0 bytes/workgroup (compile time only)
; SGPRBlocks: 8
; VGPRBlocks: 4
; NumSGPRsForWavesPerEU: 70
; NumVGPRsForWavesPerEU: 36
; Occupancy: 16
; WaveLimiterHint : 0
; COMPUTE_PGM_RSRC2:SCRATCH_EN: 0
; COMPUTE_PGM_RSRC2:USER_SGPR: 15
; COMPUTE_PGM_RSRC2:TRAP_HANDLER: 0
; COMPUTE_PGM_RSRC2:TGID_X_EN: 1
; COMPUTE_PGM_RSRC2:TGID_Y_EN: 0
; COMPUTE_PGM_RSRC2:TGID_Z_EN: 0
; COMPUTE_PGM_RSRC2:TIDIG_COMP_CNT: 0
	.section	.text._ZN2at6native12_GLOBAL__N_143conv_depthwise3d_cuda_backward_input_kernelIffLi3ELi3ELi3ELi1ELi1ELi1ELi1ELi1ELi1EEEvN5torch10headeronly6detail27GenericPackedTensorAccessorINS5_14TensorAccessorIN3c108ArrayRefIlEEKT_Lm4ENS4_16DefaultPtrTraitsEiEENS_6detail16IndexBoundsCheckILm5EiEESC_Lm5ESD_iEENS6_INS7_ISA_SB_Lm4ESD_iEESH_SB_Lm5ESD_iEESI_iiiiiiiii,"axG",@progbits,_ZN2at6native12_GLOBAL__N_143conv_depthwise3d_cuda_backward_input_kernelIffLi3ELi3ELi3ELi1ELi1ELi1ELi1ELi1ELi1EEEvN5torch10headeronly6detail27GenericPackedTensorAccessorINS5_14TensorAccessorIN3c108ArrayRefIlEEKT_Lm4ENS4_16DefaultPtrTraitsEiEENS_6detail16IndexBoundsCheckILm5EiEESC_Lm5ESD_iEENS6_INS7_ISA_SB_Lm4ESD_iEESH_SB_Lm5ESD_iEESI_iiiiiiiii,comdat
	.globl	_ZN2at6native12_GLOBAL__N_143conv_depthwise3d_cuda_backward_input_kernelIffLi3ELi3ELi3ELi1ELi1ELi1ELi1ELi1ELi1EEEvN5torch10headeronly6detail27GenericPackedTensorAccessorINS5_14TensorAccessorIN3c108ArrayRefIlEEKT_Lm4ENS4_16DefaultPtrTraitsEiEENS_6detail16IndexBoundsCheckILm5EiEESC_Lm5ESD_iEENS6_INS7_ISA_SB_Lm4ESD_iEESH_SB_Lm5ESD_iEESI_iiiiiiiii ; -- Begin function _ZN2at6native12_GLOBAL__N_143conv_depthwise3d_cuda_backward_input_kernelIffLi3ELi3ELi3ELi1ELi1ELi1ELi1ELi1ELi1EEEvN5torch10headeronly6detail27GenericPackedTensorAccessorINS5_14TensorAccessorIN3c108ArrayRefIlEEKT_Lm4ENS4_16DefaultPtrTraitsEiEENS_6detail16IndexBoundsCheckILm5EiEESC_Lm5ESD_iEENS6_INS7_ISA_SB_Lm4ESD_iEESH_SB_Lm5ESD_iEESI_iiiiiiiii
	.p2align	8
	.type	_ZN2at6native12_GLOBAL__N_143conv_depthwise3d_cuda_backward_input_kernelIffLi3ELi3ELi3ELi1ELi1ELi1ELi1ELi1ELi1EEEvN5torch10headeronly6detail27GenericPackedTensorAccessorINS5_14TensorAccessorIN3c108ArrayRefIlEEKT_Lm4ENS4_16DefaultPtrTraitsEiEENS_6detail16IndexBoundsCheckILm5EiEESC_Lm5ESD_iEENS6_INS7_ISA_SB_Lm4ESD_iEESH_SB_Lm5ESD_iEESI_iiiiiiiii,@function
_ZN2at6native12_GLOBAL__N_143conv_depthwise3d_cuda_backward_input_kernelIffLi3ELi3ELi3ELi1ELi1ELi1ELi1ELi1ELi1EEEvN5torch10headeronly6detail27GenericPackedTensorAccessorINS5_14TensorAccessorIN3c108ArrayRefIlEEKT_Lm4ENS4_16DefaultPtrTraitsEiEENS_6detail16IndexBoundsCheckILm5EiEESC_Lm5ESD_iEENS6_INS7_ISA_SB_Lm4ESD_iEESH_SB_Lm5ESD_iEESI_iiiiiiiii: ; @_ZN2at6native12_GLOBAL__N_143conv_depthwise3d_cuda_backward_input_kernelIffLi3ELi3ELi3ELi1ELi1ELi1ELi1ELi1ELi1EEEvN5torch10headeronly6detail27GenericPackedTensorAccessorINS5_14TensorAccessorIN3c108ArrayRefIlEEKT_Lm4ENS4_16DefaultPtrTraitsEiEENS_6detail16IndexBoundsCheckILm5EiEESC_Lm5ESD_iEENS6_INS7_ISA_SB_Lm4ESD_iEESH_SB_Lm5ESD_iEESI_iiiiiiiii
; %bb.0:
	s_clause 0x2
	s_load_b128 s[8:11], s[0:1], 0x38
	s_load_b32 s4, s[0:1], 0xc4
	s_load_b64 s[24:25], s[0:1], 0x48
	s_mov_b32 s6, exec_lo
	s_waitcnt lgkmcnt(0)
	s_abs_i32 s7, s9
	s_add_u32 s2, s0, 0xb8
	v_cvt_f32_u32_e32 v1, s7
	s_addc_u32 s3, s1, 0
	s_and_b32 s4, s4, 0xffff
	s_mul_i32 s26, s25, s8
	s_delay_alu instid0(SALU_CYCLE_1) | instskip(SKIP_3) | instid1(VALU_DEP_1)
	s_ashr_i32 s27, s26, 31
	v_rcp_iflag_f32_e32 v2, v1
	s_waitcnt_depctr 0xfff
	v_dual_mov_b32 v1, 0 :: v_dual_mul_f32 v4, 0x4f7ffffe, v2
	v_mad_u64_u32 v[2:3], null, s4, s15, v[0:1]
	s_delay_alu instid0(VALU_DEP_2) | instskip(NEXT) | instid1(VALU_DEP_1)
	v_cvt_u32_f32_e32 v0, v4
	v_readfirstlane_b32 s5, v0
	s_delay_alu instid0(VALU_DEP_3)
	v_cmpx_gt_i64_e64 s[26:27], v[2:3]
	s_cbranch_execz .LBB17_60
; %bb.1:
	s_clause 0x1
	s_load_b128 s[12:15], s[0:1], 0xc
	s_load_b64 s[28:29], s[0:1], 0x0
	s_sub_i32 s6, 0, s7
	s_mov_b32 s39, 0
	s_mul_i32 s8, s6, s5
	v_mul_lo_u32 v6, s6, v0
	s_mul_hi_u32 s8, s5, s8
	s_delay_alu instid0(SALU_CYCLE_1) | instskip(SKIP_1) | instid1(VALU_DEP_1)
	s_add_i32 s5, s5, s8
	s_ashr_i32 s8, s9, 31
	v_mul_hi_u32 v6, v0, v6
	s_waitcnt lgkmcnt(0)
	s_abs_i32 s16, s12
	s_ashr_i32 s12, s12, 31
	s_mul_hi_u32 s5, s16, s5
	s_xor_b32 s42, s12, s8
	s_mul_i32 s17, s5, s7
	s_delay_alu instid0(VALU_DEP_1)
	v_add_nc_u32_e32 v63, v0, v6
	s_sub_i32 s12, s16, s17
	s_add_i32 s16, s5, 1
	s_sub_i32 s17, s12, s7
	s_cmp_ge_u32 s12, s7
	s_cselect_b32 s5, s16, s5
	s_cselect_b32 s12, s17, s12
	s_add_i32 s16, s5, 1
	s_cmp_ge_u32 s12, s7
	s_cselect_b32 s5, s16, s5
	s_abs_i32 s12, s24
	s_abs_i32 s33, s11
	v_cvt_f32_u32_e32 v1, s12
	v_cvt_f32_u32_e32 v4, s33
	s_abs_i32 s38, s10
	s_load_b32 s2, s[2:3], 0x0
	s_load_b128 s[16:19], s[0:1], 0x9c
	v_cvt_f32_u32_e32 v5, s38
	v_rcp_iflag_f32_e32 v1, v1
	v_rcp_iflag_f32_e32 v4, v4
	s_sub_i32 s3, 0, s12
	s_sub_i32 s6, 0, s33
	v_rcp_iflag_f32_e32 v5, v5
	s_sub_i32 s20, 0, s38
	s_waitcnt lgkmcnt(0)
	s_clause 0x2
	s_load_b32 s19, s[0:1], 0x7c
	s_load_b64 s[30:31], s[0:1], 0x1c
	s_load_b64 s[34:35], s[0:1], 0x30
	s_ashr_i32 s41, s24, 31
	s_ashr_i32 s43, s11, 31
	;; [unrolled: 1-line block ×3, first 2 shown]
	s_waitcnt_depctr 0xfff
	v_dual_mul_f32 v1, 0x4f7ffffe, v1 :: v_dual_mul_f32 v4, 0x4f7ffffe, v4
	s_delay_alu instid0(VALU_DEP_1) | instskip(NEXT) | instid1(VALU_DEP_2)
	v_cvt_u32_f32_e32 v1, v1
	v_cvt_u32_f32_e32 v4, v4
	s_mul_i32 s40, s2, s4
	s_delay_alu instid0(VALU_DEP_2) | instskip(NEXT) | instid1(VALU_DEP_2)
	v_mul_lo_u32 v7, s3, v1
	v_mul_lo_u32 v8, s6, v4
	s_delay_alu instid0(VALU_DEP_2) | instskip(SKIP_1) | instid1(VALU_DEP_3)
	v_mul_hi_u32 v7, v1, v7
	v_mul_f32_e32 v5, 0x4f7ffffe, v5
	v_mul_hi_u32 v8, v4, v8
	s_delay_alu instid0(VALU_DEP_3) | instskip(NEXT) | instid1(VALU_DEP_3)
	v_add_nc_u32_e32 v60, v1, v7
	v_cvt_u32_f32_e32 v5, v5
	s_delay_alu instid0(VALU_DEP_3) | instskip(NEXT) | instid1(VALU_DEP_2)
	v_add_nc_u32_e32 v61, v4, v8
	v_mul_lo_u32 v9, s20, v5
	s_clause 0x1
	s_load_b64 s[36:37], s[0:1], 0x60
	s_load_b128 s[20:23], s[0:1], 0x50
	s_xor_b32 s0, s5, s42
	s_delay_alu instid0(SALU_CYCLE_1) | instskip(SKIP_3) | instid1(VALU_DEP_1)
	s_sub_i32 s42, s0, s42
	s_waitcnt lgkmcnt(0)
	s_mul_i32 s45, s31, s42
	v_mul_hi_u32 v9, v5, v9
	v_add_nc_u32_e32 v62, v5, v9
	s_branch .LBB17_3
.LBB17_2:                               ;   in Loop: Header=BB17_3 Depth=1
	s_or_b32 exec_lo, exec_lo, s46
	v_mul_lo_u32 v0, v68, s25
	v_mul_lo_u32 v4, s20, v66
	;; [unrolled: 1-line block ×4, first 2 shown]
	v_add_co_u32 v2, vcc_lo, v2, s40
	v_add_co_ci_u32_e32 v3, vcc_lo, 0, v3, vcc_lo
	v_ashrrev_i32_e32 v1, 31, v0
	v_ashrrev_i32_e32 v5, 31, v4
	;; [unrolled: 1-line block ×3, first 2 shown]
	v_mul_lo_u32 v10, s23, v64
	v_ashrrev_i32_e32 v9, 31, v8
	v_lshlrev_b64 v[0:1], 2, v[0:1]
	v_lshlrev_b64 v[4:5], 2, v[4:5]
	s_delay_alu instid0(VALU_DEP_4) | instskip(NEXT) | instid1(VALU_DEP_3)
	v_ashrrev_i32_e32 v11, 31, v10
	v_add_co_u32 v12, vcc_lo, s34, v0
	s_delay_alu instid0(VALU_DEP_4) | instskip(SKIP_1) | instid1(VALU_DEP_3)
	v_add_co_ci_u32_e32 v13, vcc_lo, s35, v1, vcc_lo
	v_lshlrev_b64 v[0:1], 2, v[6:7]
	v_add_co_u32 v6, vcc_lo, v12, v4
	s_delay_alu instid0(VALU_DEP_3) | instskip(SKIP_1) | instid1(VALU_DEP_3)
	v_add_co_ci_u32_e32 v7, vcc_lo, v13, v5, vcc_lo
	v_lshlrev_b64 v[4:5], 2, v[8:9]
	v_add_co_u32 v6, vcc_lo, v6, v0
	s_delay_alu instid0(VALU_DEP_3) | instskip(SKIP_1) | instid1(VALU_DEP_3)
	v_add_co_ci_u32_e32 v7, vcc_lo, v7, v1, vcc_lo
	v_lshlrev_b64 v[0:1], 2, v[10:11]
	v_add_co_u32 v4, vcc_lo, v6, v4
	s_delay_alu instid0(VALU_DEP_3) | instskip(SKIP_1) | instid1(VALU_DEP_3)
	v_add_co_ci_u32_e32 v5, vcc_lo, v7, v5, vcc_lo
	v_cmp_le_i64_e32 vcc_lo, s[26:27], v[2:3]
	v_add_co_u32 v0, s0, v4, v0
	s_delay_alu instid0(VALU_DEP_1)
	v_add_co_ci_u32_e64 v1, s0, v5, v1, s0
	s_or_b32 s39, vcc_lo, s39
	global_store_b32 v[0:1], v71, off
	s_and_not1_b32 exec_lo, exec_lo, s39
	s_cbranch_execz .LBB17_60
.LBB17_3:                               ; =>This Loop Header: Depth=1
                                        ;     Child Loop BB17_6 Depth 2
	v_sub_nc_u32_e32 v0, 0, v2
	s_mov_b32 s46, exec_lo
	v_mov_b32_e32 v71, 0
	s_delay_alu instid0(VALU_DEP_2) | instskip(NEXT) | instid1(VALU_DEP_1)
	v_max_i32_e32 v0, v2, v0
	v_mul_hi_u32 v1, v0, v60
	s_delay_alu instid0(VALU_DEP_1) | instskip(NEXT) | instid1(VALU_DEP_1)
	v_mul_lo_u32 v4, v1, s12
	v_sub_nc_u32_e32 v0, v0, v4
	v_add_nc_u32_e32 v4, 1, v1
	s_delay_alu instid0(VALU_DEP_2) | instskip(SKIP_1) | instid1(VALU_DEP_2)
	v_subrev_nc_u32_e32 v5, s12, v0
	v_cmp_le_u32_e32 vcc_lo, s12, v0
	v_dual_cndmask_b32 v1, v1, v4 :: v_dual_cndmask_b32 v0, v0, v5
	v_ashrrev_i32_e32 v4, 31, v2
	s_delay_alu instid0(VALU_DEP_2) | instskip(NEXT) | instid1(VALU_DEP_3)
	v_add_nc_u32_e32 v5, 1, v1
	v_cmp_le_u32_e32 vcc_lo, s12, v0
	s_delay_alu instid0(VALU_DEP_3) | instskip(NEXT) | instid1(VALU_DEP_3)
	v_xor_b32_e32 v4, s41, v4
	v_cndmask_b32_e32 v0, v1, v5, vcc_lo
	s_delay_alu instid0(VALU_DEP_1) | instskip(NEXT) | instid1(VALU_DEP_1)
	v_xor_b32_e32 v0, v0, v4
	v_sub_nc_u32_e32 v1, v0, v4
	s_delay_alu instid0(VALU_DEP_1) | instskip(NEXT) | instid1(VALU_DEP_1)
	v_sub_nc_u32_e32 v0, 0, v1
	v_max_i32_e32 v0, v1, v0
	s_delay_alu instid0(VALU_DEP_1) | instskip(NEXT) | instid1(VALU_DEP_1)
	v_mul_hi_u32 v4, v0, v61
	v_mul_lo_u32 v5, v4, s33
	s_delay_alu instid0(VALU_DEP_1) | instskip(SKIP_1) | instid1(VALU_DEP_2)
	v_sub_nc_u32_e32 v0, v0, v5
	v_add_nc_u32_e32 v5, 1, v4
	v_subrev_nc_u32_e32 v6, s33, v0
	v_cmp_le_u32_e32 vcc_lo, s33, v0
	s_delay_alu instid0(VALU_DEP_3) | instskip(NEXT) | instid1(VALU_DEP_3)
	v_cndmask_b32_e32 v4, v4, v5, vcc_lo
	v_cndmask_b32_e32 v0, v0, v6, vcc_lo
	v_ashrrev_i32_e32 v5, 31, v1
	s_delay_alu instid0(VALU_DEP_3) | instskip(NEXT) | instid1(VALU_DEP_3)
	v_add_nc_u32_e32 v6, 1, v4
	v_cmp_le_u32_e32 vcc_lo, s33, v0
	s_delay_alu instid0(VALU_DEP_3) | instskip(NEXT) | instid1(VALU_DEP_3)
	v_xor_b32_e32 v5, s43, v5
	v_cndmask_b32_e32 v0, v4, v6, vcc_lo
	s_delay_alu instid0(VALU_DEP_1) | instskip(NEXT) | instid1(VALU_DEP_1)
	v_xor_b32_e32 v0, v0, v5
	v_sub_nc_u32_e32 v4, v0, v5
	s_delay_alu instid0(VALU_DEP_1) | instskip(NEXT) | instid1(VALU_DEP_1)
	v_sub_nc_u32_e32 v0, 0, v4
	v_max_i32_e32 v0, v4, v0
	s_delay_alu instid0(VALU_DEP_1) | instskip(NEXT) | instid1(VALU_DEP_1)
	v_mul_hi_u32 v5, v0, v62
	v_mul_lo_u32 v6, v5, s38
	s_delay_alu instid0(VALU_DEP_1) | instskip(SKIP_1) | instid1(VALU_DEP_2)
	v_sub_nc_u32_e32 v0, v0, v6
	v_add_nc_u32_e32 v6, 1, v5
	v_subrev_nc_u32_e32 v7, s38, v0
	v_cmp_le_u32_e32 vcc_lo, s38, v0
	s_delay_alu instid0(VALU_DEP_2) | instskip(SKIP_1) | instid1(VALU_DEP_2)
	v_dual_cndmask_b32 v5, v5, v6 :: v_dual_cndmask_b32 v0, v0, v7
	v_ashrrev_i32_e32 v6, 31, v4
	v_add_nc_u32_e32 v7, 1, v5
	s_delay_alu instid0(VALU_DEP_3) | instskip(NEXT) | instid1(VALU_DEP_3)
	v_cmp_le_u32_e32 vcc_lo, s38, v0
	v_xor_b32_e32 v6, s44, v6
	s_delay_alu instid0(VALU_DEP_3) | instskip(NEXT) | instid1(VALU_DEP_1)
	v_cndmask_b32_e32 v0, v5, v7, vcc_lo
	v_xor_b32_e32 v0, v0, v6
	s_delay_alu instid0(VALU_DEP_1) | instskip(NEXT) | instid1(VALU_DEP_1)
	v_sub_nc_u32_e32 v5, v0, v6
	v_sub_nc_u32_e32 v0, 0, v5
	s_delay_alu instid0(VALU_DEP_1) | instskip(NEXT) | instid1(VALU_DEP_1)
	v_max_i32_e32 v0, v5, v0
	v_mul_hi_u32 v6, v0, v63
	s_delay_alu instid0(VALU_DEP_1) | instskip(NEXT) | instid1(VALU_DEP_1)
	v_mul_lo_u32 v7, v6, s7
	v_sub_nc_u32_e32 v0, v0, v7
	v_add_nc_u32_e32 v7, 1, v6
	s_delay_alu instid0(VALU_DEP_2) | instskip(SKIP_1) | instid1(VALU_DEP_3)
	v_subrev_nc_u32_e32 v8, s7, v0
	v_cmp_le_u32_e32 vcc_lo, s7, v0
	v_cndmask_b32_e32 v6, v6, v7, vcc_lo
	s_delay_alu instid0(VALU_DEP_3) | instskip(SKIP_1) | instid1(VALU_DEP_3)
	v_cndmask_b32_e32 v0, v0, v8, vcc_lo
	v_ashrrev_i32_e32 v7, 31, v5
	v_add_nc_u32_e32 v8, 1, v6
	s_delay_alu instid0(VALU_DEP_3) | instskip(NEXT) | instid1(VALU_DEP_3)
	v_cmp_le_u32_e32 vcc_lo, s7, v0
	v_xor_b32_e32 v7, s8, v7
	s_delay_alu instid0(VALU_DEP_3) | instskip(SKIP_1) | instid1(VALU_DEP_2)
	v_cndmask_b32_e32 v0, v6, v8, vcc_lo
	v_mul_lo_u32 v6, v1, s24
	v_xor_b32_e32 v0, v0, v7
	s_delay_alu instid0(VALU_DEP_2) | instskip(NEXT) | instid1(VALU_DEP_2)
	v_sub_nc_u32_e32 v64, v2, v6
	v_sub_nc_u32_e32 v68, v0, v7
	v_mul_lo_u32 v7, v4, s11
	s_delay_alu instid0(VALU_DEP_2) | instskip(NEXT) | instid1(VALU_DEP_2)
	v_mul_lo_u32 v0, v68, s9
	v_sub_nc_u32_e32 v65, v1, v7
	s_delay_alu instid0(VALU_DEP_2) | instskip(SKIP_1) | instid1(VALU_DEP_2)
	v_sub_nc_u32_e32 v66, v5, v0
	v_mul_lo_u32 v5, v5, s10
	v_mul_lo_u32 v0, v66, s42
	s_delay_alu instid0(VALU_DEP_2) | instskip(NEXT) | instid1(VALU_DEP_2)
	v_sub_nc_u32_e32 v67, v4, v5
	v_add_nc_u32_e32 v8, s42, v0
	s_delay_alu instid0(VALU_DEP_1)
	v_cmpx_lt_i32_e64 v0, v8
	s_cbranch_execz .LBB17_2
; %bb.4:                                ;   in Loop: Header=BB17_3 Depth=1
	v_mul_lo_u32 v0, s19, v0
	v_add_nc_u32_e32 v21, s16, v67
	v_mul_lo_u32 v5, s30, v68
	v_add_nc_u32_e32 v40, s17, v65
	v_add_nc_u32_e32 v4, s18, v64
	s_delay_alu instid0(VALU_DEP_4) | instskip(SKIP_2) | instid1(VALU_DEP_4)
	v_mul_lo_u32 v22, v21, s14
	v_cmp_gt_i32_e64 s5, s13, v21
	v_ashrrev_i32_e32 v1, 31, v0
	v_or_b32_e32 v9, v4, v40
	v_ashrrev_i32_e32 v6, 31, v5
	v_cmp_gt_i32_e64 s4, s14, v40
	v_add_nc_u32_e32 v58, -2, v4
	v_lshlrev_b64 v[0:1], 2, v[0:1]
	v_add_nc_u32_e32 v7, v40, v22
	v_lshlrev_b64 v[5:6], 2, v[5:6]
	v_add_nc_u32_e32 v44, -1, v40
	v_add_nc_u32_e32 v8, -2, v40
	;; [unrolled: 1-line block ×3, first 2 shown]
	v_add_co_u32 v0, vcc_lo, s36, v0
	v_mul_lo_u32 v11, v7, s15
	v_add_nc_u32_e32 v7, -1, v4
	v_add_co_ci_u32_e32 v1, vcc_lo, s37, v1, vcc_lo
	v_add_co_u32 v69, vcc_lo, s28, v5
	v_or_b32_e32 v5, v9, v21
	s_delay_alu instid0(VALU_DEP_4) | instskip(SKIP_2) | instid1(VALU_DEP_4)
	v_or_b32_e32 v10, v7, v40
	v_add_co_ci_u32_e32 v70, vcc_lo, s29, v6, vcc_lo
	v_cmp_gt_i32_e32 vcc_lo, s15, v4
	v_cmp_lt_i32_e64 s0, -1, v5
	s_delay_alu instid0(VALU_DEP_4)
	v_or_b32_e32 v12, v10, v21
	v_or_b32_e32 v14, v4, v44
	;; [unrolled: 1-line block ×4, first 2 shown]
	s_and_b32 s0, vcc_lo, s0
	v_cmp_lt_i32_e64 s1, -1, v12
	s_and_b32 s0, s0, s4
	v_or_b32_e32 v12, v58, v40
	s_and_b32 s47, s0, s5
	v_cmp_gt_i32_e64 s0, s15, v7
	v_or_b32_e32 v15, v16, v21
	v_or_b32_e32 v20, v4, v8
	;; [unrolled: 1-line block ×4, first 2 shown]
	s_and_b32 s1, s0, s1
	v_or_b32_e32 v25, v7, v8
	s_and_b32 s1, s1, s4
	v_cmp_lt_i32_e64 s2, -1, v13
	s_and_b32 s48, s1, s5
	v_cmp_gt_i32_e64 s1, s15, v58
	v_or_b32_e32 v13, v14, v21
	v_or_b32_e32 v31, v20, v21
	;; [unrolled: 1-line block ×4, first 2 shown]
	s_and_b32 s2, s1, s2
	v_cmp_lt_i32_e64 s3, -1, v13
	s_and_b32 s2, s2, s4
	v_or_b32_e32 v26, v10, v24
	s_and_b32 s49, s2, s5
	v_cmp_gt_i32_e64 s2, s14, v44
	s_and_b32 s3, vcc_lo, s3
	s_and_b32 s65, vcc_lo, s4
	v_or_b32_e32 v28, v12, v24
	v_or_b32_e32 v29, v14, v24
	s_and_b32 s6, s3, s2
	v_cmp_lt_i32_e64 s3, -1, v15
	s_and_b32 s50, s6, s5
	v_cmp_lt_i32_e64 s6, -1, v31
	v_or_b32_e32 v31, v25, v21
	s_and_b32 s66, s0, s4
	s_and_b32 s3, s0, s3
	v_or_b32_e32 v30, v16, v24
	s_and_b32 s3, s3, s2
	s_and_b32 s53, vcc_lo, s6
	s_and_b32 s51, s3, s5
	v_cmp_lt_i32_e64 s3, -1, v19
	v_cmp_lt_i32_e64 s6, -1, v31
	v_or_b32_e32 v31, v27, v21
	s_and_b32 s67, s1, s4
	v_cmp_lt_i32_e64 s4, -1, v29
	s_and_b32 s3, s1, s3
	s_and_b32 s6, s0, s6
	;; [unrolled: 1-line block ×3, first 2 shown]
	v_or_b32_e32 v32, v17, v24
	s_and_b32 s52, s3, s5
	v_cmp_gt_i32_e64 s3, s14, v8
	s_and_b32 s4, vcc_lo, s4
	v_or_b32_e32 v34, v20, v24
	s_and_b32 s4, s4, s2
	v_or_b32_e32 v36, v25, v24
	s_and_b32 s6, s6, s3
	s_and_b32 s53, s53, s3
	;; [unrolled: 1-line block ×3, first 2 shown]
	v_cmp_lt_i32_e64 s6, -1, v31
	s_and_b32 s53, s53, s5
	v_or_b32_e32 v41, v27, v24
	v_add_nc_u32_e32 v42, -2, v21
	v_subrev_nc_u32_e32 v39, s14, v22
	s_and_b32 s6, s1, s6
	v_add_nc_u32_e32 v19, v8, v22
	s_and_b32 s55, s6, s3
	v_cmp_lt_i32_e64 s6, -1, v23
	s_and_b32 s55, s55, s5
	v_cmp_gt_i32_e64 s5, s13, v24
	v_or_b32_e32 v43, v9, v42
	v_or_b32_e32 v45, v10, v42
	s_and_b32 s56, s65, s6
	v_cmp_lt_i32_e64 s6, -1, v26
	s_and_b32 s59, s4, s5
	v_cmp_lt_i32_e64 s4, -1, v32
	v_or_b32_e32 v46, v12, v42
	s_and_b32 s56, s56, s5
	s_and_b32 s57, s66, s6
	v_cmp_lt_i32_e64 s6, -1, v28
	s_and_b32 s57, s57, s5
	v_or_b32_e32 v47, v14, v42
	v_or_b32_e32 v48, v16, v42
	;; [unrolled: 1-line block ×3, first 2 shown]
	s_and_b32 s6, s67, s6
	v_subrev_nc_u32_e32 v51, s14, v39
	s_and_b32 s58, s6, s5
	v_cmp_lt_i32_e64 s6, -1, v30
	v_or_b32_e32 v52, v20, v42
	v_add_nc_u32_e32 v12, v44, v22
	v_or_b32_e32 v56, v25, v42
	v_add_nc_u32_e32 v25, v40, v39
	s_and_b32 s6, s0, s6
	v_add_nc_u32_e32 v28, v44, v39
	s_and_b32 s6, s6, s2
	;; [unrolled: 2-line block ×3, first 2 shown]
	s_and_b32 s6, s1, s4
	v_cmp_lt_i32_e64 s4, -1, v34
	s_and_b32 s6, s6, s2
	v_add_nc_u32_e32 v8, v8, v51
	s_and_b32 s61, s6, s5
	v_mul_lo_u32 v18, v12, s15
	s_and_b32 s4, vcc_lo, s4
	v_mul_lo_u32 v33, v19, s15
	s_and_b32 s6, s4, s3
	v_cmp_lt_i32_e64 s4, -1, v36
	s_and_b32 s62, s6, s5
	v_mul_lo_u32 v31, v25, s15
	v_mul_lo_u32 v35, v28, s15
	;; [unrolled: 1-line block ×3, first 2 shown]
	s_and_b32 s6, s0, s4
	v_cmp_lt_i32_e64 s4, -1, v41
	s_and_b32 s6, s6, s3
	v_add_nc_u32_e32 v41, v40, v51
	s_and_b32 s63, s6, s5
	v_mul_lo_u32 v8, v8, s15
	s_and_b32 s4, s1, s4
	v_or_b32_e32 v57, v27, v42
	s_and_b32 s6, s4, s3
	v_cmp_lt_i32_e64 s4, -1, v43
	s_and_b32 s64, s6, s5
	v_cmp_gt_i32_e64 s5, s13, v42
	v_cmp_lt_i32_e64 s6, -1, v45
	v_mul_lo_u32 v53, v41, s15
	s_and_b32 s4, s65, s4
	v_add_nc_u32_e32 v5, v4, v11
	s_and_b32 s65, s4, s5
	v_cmp_lt_i32_e64 s4, -1, v46
	s_and_b32 s6, s66, s6
	v_add_nc_u32_e32 v46, v44, v51
	s_and_b32 s66, s6, s5
	v_add_nc_u32_e32 v9, v7, v11
	s_and_b32 s6, s67, s4
	v_cmp_lt_i32_e64 s4, -1, v47
	s_and_b32 s67, s6, s5
	v_cmp_lt_i32_e64 s6, -1, v48
	v_mul_lo_u32 v54, v46, s15
	v_add_nc_u32_e32 v11, v58, v11
	s_and_b32 s4, vcc_lo, s4
	v_add_nc_u32_e32 v13, v4, v18
	s_and_b32 s4, s4, s2
	s_and_b32 s68, s0, s6
	;; [unrolled: 1-line block ×3, first 2 shown]
	v_cmp_lt_i32_e64 s4, -1, v50
	s_and_b32 s68, s68, s2
	v_add_nc_u32_e32 v15, v7, v18
	v_add_nc_u32_e32 v17, v58, v18
	;; [unrolled: 1-line block ×3, first 2 shown]
	s_and_b32 s69, s1, s4
	v_cmp_lt_i32_e64 s4, -1, v52
	s_and_b32 s2, s69, s2
	v_add_nc_u32_e32 v21, v7, v33
	s_and_b32 s69, s2, s5
	v_add_nc_u32_e32 v23, v58, v33
	s_and_b32 s2, vcc_lo, s4
	v_add_nc_u32_e32 v25, v4, v31
	s_and_b32 s2, s2, s3
	v_add_nc_u32_e32 v27, v7, v31
	v_add_nc_u32_e32 v29, v58, v31
	;; [unrolled: 1-line block ×15, first 2 shown]
	s_and_b32 s4, s2, s5
	v_cmp_lt_i32_e64 s2, -1, v57
	v_add_nc_u32_e32 v57, v7, v8
	v_add_nc_u32_e32 v71, v58, v8
	v_ashrrev_i32_e32 v6, 31, v5
	v_ashrrev_i32_e32 v10, 31, v9
	;; [unrolled: 1-line block ×24, first 2 shown]
	v_cmp_lt_i32_e32 vcc_lo, -1, v56
	v_ashrrev_i32_e32 v56, 31, v55
	v_ashrrev_i32_e32 v58, 31, v57
	;; [unrolled: 1-line block ×3, first 2 shown]
	v_mul_lo_u32 v4, s45, v66
	s_and_b32 s0, s0, vcc_lo
	s_and_b32 s1, s1, s2
	v_lshlrev_b64 v[6:7], 2, v[5:6]
	v_lshlrev_b64 v[8:9], 2, v[9:10]
	;; [unrolled: 1-line block ×27, first 2 shown]
	v_mov_b32_e32 v71, 0
	s_and_b32 s0, s0, s3
	s_and_b32 s1, s1, s3
	;; [unrolled: 1-line block ×5, first 2 shown]
	s_mov_b32 s2, s42
	s_branch .LBB17_6
.LBB17_5:                               ;   in Loop: Header=BB17_6 Depth=2
	s_or_b32 exec_lo, exec_lo, s3
	s_waitcnt vmcnt(26)
	v_dual_fmac_f32 v71, v72, v5 :: v_dual_add_nc_u32 v4, s31, v4
	v_add_co_u32 v0, vcc_lo, 0x6c, v0
	v_add_co_ci_u32_e32 v1, vcc_lo, 0, v1, vcc_lo
	s_waitcnt vmcnt(25)
	s_delay_alu instid0(VALU_DEP_3) | instskip(SKIP_1) | instid1(SALU_CYCLE_1)
	v_fmac_f32_e32 v71, v75, v77
	s_add_i32 s2, s2, -1
	s_cmp_eq_u32 s2, 0
	s_waitcnt vmcnt(24)
	s_delay_alu instid0(VALU_DEP_1) | instskip(SKIP_1) | instid1(VALU_DEP_1)
	v_fmac_f32_e32 v71, v78, v76
	s_waitcnt vmcnt(23)
	v_fmac_f32_e32 v71, v79, v81
	s_waitcnt vmcnt(22)
	s_delay_alu instid0(VALU_DEP_1) | instskip(SKIP_1) | instid1(VALU_DEP_1)
	v_fmac_f32_e32 v71, v82, v80
	s_waitcnt vmcnt(21)
	v_fmac_f32_e32 v71, v83, v85
	;; [unrolled: 5-line block ×12, first 2 shown]
	s_waitcnt vmcnt(0)
	s_delay_alu instid0(VALU_DEP_1)
	v_fmac_f32_e32 v71, v126, v123
	s_cbranch_scc1 .LBB17_2
.LBB17_6:                               ;   Parent Loop BB17_3 Depth=1
                                        ; =>  This Inner Loop Header: Depth=2
	global_load_b32 v72, v[0:1], off
	v_ashrrev_i32_e32 v5, 31, v4
	s_delay_alu instid0(VALU_DEP_1) | instskip(SKIP_1) | instid1(VALU_DEP_2)
	v_lshlrev_b64 v[73:74], 2, v[4:5]
	v_mov_b32_e32 v5, 0
	v_add_co_u32 v73, vcc_lo, v69, v73
	s_delay_alu instid0(VALU_DEP_3)
	v_add_co_ci_u32_e32 v74, vcc_lo, v70, v74, vcc_lo
	s_and_saveexec_b32 s3, s47
	s_cbranch_execz .LBB17_8
; %bb.7:                                ;   in Loop: Header=BB17_6 Depth=2
	s_delay_alu instid0(VALU_DEP_2) | instskip(NEXT) | instid1(VALU_DEP_2)
	v_add_co_u32 v75, vcc_lo, v73, v6
	v_add_co_ci_u32_e32 v76, vcc_lo, v74, v7, vcc_lo
	global_load_b32 v5, v[75:76], off
.LBB17_8:                               ;   in Loop: Header=BB17_6 Depth=2
	s_or_b32 exec_lo, exec_lo, s3
	global_load_b32 v75, v[0:1], off offset:4
	v_dual_mov_b32 v76, 0 :: v_dual_mov_b32 v77, 0
	s_and_saveexec_b32 s3, s48
	s_cbranch_execz .LBB17_10
; %bb.9:                                ;   in Loop: Header=BB17_6 Depth=2
	v_add_co_u32 v77, vcc_lo, v73, v8
	v_add_co_ci_u32_e32 v78, vcc_lo, v74, v9, vcc_lo
	global_load_b32 v77, v[77:78], off
.LBB17_10:                              ;   in Loop: Header=BB17_6 Depth=2
	s_or_b32 exec_lo, exec_lo, s3
	global_load_b32 v78, v[0:1], off offset:8
	s_and_saveexec_b32 s3, s49
	s_cbranch_execz .LBB17_12
; %bb.11:                               ;   in Loop: Header=BB17_6 Depth=2
	v_add_co_u32 v79, vcc_lo, v73, v10
	v_add_co_ci_u32_e32 v80, vcc_lo, v74, v11, vcc_lo
	global_load_b32 v76, v[79:80], off
.LBB17_12:                              ;   in Loop: Header=BB17_6 Depth=2
	s_or_b32 exec_lo, exec_lo, s3
	global_load_b32 v79, v[0:1], off offset:12
	v_dual_mov_b32 v80, 0 :: v_dual_mov_b32 v81, 0
	s_and_saveexec_b32 s3, s50
	s_cbranch_execz .LBB17_14
; %bb.13:                               ;   in Loop: Header=BB17_6 Depth=2
	v_add_co_u32 v81, vcc_lo, v73, v12
	v_add_co_ci_u32_e32 v82, vcc_lo, v74, v13, vcc_lo
	global_load_b32 v81, v[81:82], off
.LBB17_14:                              ;   in Loop: Header=BB17_6 Depth=2
	s_or_b32 exec_lo, exec_lo, s3
	global_load_b32 v82, v[0:1], off offset:16
	s_and_saveexec_b32 s3, s51
	s_cbranch_execz .LBB17_16
; %bb.15:                               ;   in Loop: Header=BB17_6 Depth=2
	v_add_co_u32 v83, vcc_lo, v73, v14
	v_add_co_ci_u32_e32 v84, vcc_lo, v74, v15, vcc_lo
	global_load_b32 v80, v[83:84], off
.LBB17_16:                              ;   in Loop: Header=BB17_6 Depth=2
	s_or_b32 exec_lo, exec_lo, s3
	global_load_b32 v83, v[0:1], off offset:20
	v_dual_mov_b32 v84, 0 :: v_dual_mov_b32 v85, 0
	s_and_saveexec_b32 s3, s52
	s_cbranch_execz .LBB17_18
; %bb.17:                               ;   in Loop: Header=BB17_6 Depth=2
	v_add_co_u32 v85, vcc_lo, v73, v16
	v_add_co_ci_u32_e32 v86, vcc_lo, v74, v17, vcc_lo
	global_load_b32 v85, v[85:86], off
.LBB17_18:                              ;   in Loop: Header=BB17_6 Depth=2
	;; [unrolled: 19-line block ×11, first 2 shown]
	s_or_b32 exec_lo, exec_lo, s3
	global_load_b32 v122, v[0:1], off offset:96
	s_and_saveexec_b32 s3, s4
	s_cbranch_execz .LBB17_56
; %bb.55:                               ;   in Loop: Header=BB17_6 Depth=2
	v_add_co_u32 v123, vcc_lo, v73, v54
	v_add_co_ci_u32_e32 v124, vcc_lo, v74, v55, vcc_lo
	global_load_b32 v120, v[123:124], off
.LBB17_56:                              ;   in Loop: Header=BB17_6 Depth=2
	s_or_b32 exec_lo, exec_lo, s3
	global_load_b32 v124, v[0:1], off offset:100
	v_mov_b32_e32 v123, 0
	v_mov_b32_e32 v125, 0
	s_and_saveexec_b32 s3, s0
	s_cbranch_execz .LBB17_58
; %bb.57:                               ;   in Loop: Header=BB17_6 Depth=2
	v_add_co_u32 v125, vcc_lo, v73, v56
	v_add_co_ci_u32_e32 v126, vcc_lo, v74, v57, vcc_lo
	global_load_b32 v125, v[125:126], off
.LBB17_58:                              ;   in Loop: Header=BB17_6 Depth=2
	s_or_b32 exec_lo, exec_lo, s3
	global_load_b32 v126, v[0:1], off offset:104
	s_and_saveexec_b32 s3, s1
	s_cbranch_execz .LBB17_5
; %bb.59:                               ;   in Loop: Header=BB17_6 Depth=2
	v_add_co_u32 v73, vcc_lo, v73, v58
	v_add_co_ci_u32_e32 v74, vcc_lo, v74, v59, vcc_lo
	global_load_b32 v123, v[73:74], off
	s_branch .LBB17_5
.LBB17_60:
	s_nop 0
	s_sendmsg sendmsg(MSG_DEALLOC_VGPRS)
	s_endpgm
	.section	.rodata,"a",@progbits
	.p2align	6, 0x0
	.amdhsa_kernel _ZN2at6native12_GLOBAL__N_143conv_depthwise3d_cuda_backward_input_kernelIffLi3ELi3ELi3ELi1ELi1ELi1ELi1ELi1ELi1EEEvN5torch10headeronly6detail27GenericPackedTensorAccessorINS5_14TensorAccessorIN3c108ArrayRefIlEEKT_Lm4ENS4_16DefaultPtrTraitsEiEENS_6detail16IndexBoundsCheckILm5EiEESC_Lm5ESD_iEENS6_INS7_ISA_SB_Lm4ESD_iEESH_SB_Lm5ESD_iEESI_iiiiiiiii
		.amdhsa_group_segment_fixed_size 0
		.amdhsa_private_segment_fixed_size 0
		.amdhsa_kernarg_size 440
		.amdhsa_user_sgpr_count 15
		.amdhsa_user_sgpr_dispatch_ptr 0
		.amdhsa_user_sgpr_queue_ptr 0
		.amdhsa_user_sgpr_kernarg_segment_ptr 1
		.amdhsa_user_sgpr_dispatch_id 0
		.amdhsa_user_sgpr_private_segment_size 0
		.amdhsa_wavefront_size32 1
		.amdhsa_uses_dynamic_stack 0
		.amdhsa_enable_private_segment 0
		.amdhsa_system_sgpr_workgroup_id_x 1
		.amdhsa_system_sgpr_workgroup_id_y 0
		.amdhsa_system_sgpr_workgroup_id_z 0
		.amdhsa_system_sgpr_workgroup_info 0
		.amdhsa_system_vgpr_workitem_id 0
		.amdhsa_next_free_vgpr 127
		.amdhsa_next_free_sgpr 70
		.amdhsa_reserve_vcc 1
		.amdhsa_float_round_mode_32 0
		.amdhsa_float_round_mode_16_64 0
		.amdhsa_float_denorm_mode_32 3
		.amdhsa_float_denorm_mode_16_64 3
		.amdhsa_dx10_clamp 1
		.amdhsa_ieee_mode 1
		.amdhsa_fp16_overflow 0
		.amdhsa_workgroup_processor_mode 1
		.amdhsa_memory_ordered 1
		.amdhsa_forward_progress 0
		.amdhsa_shared_vgpr_count 0
		.amdhsa_exception_fp_ieee_invalid_op 0
		.amdhsa_exception_fp_denorm_src 0
		.amdhsa_exception_fp_ieee_div_zero 0
		.amdhsa_exception_fp_ieee_overflow 0
		.amdhsa_exception_fp_ieee_underflow 0
		.amdhsa_exception_fp_ieee_inexact 0
		.amdhsa_exception_int_div_zero 0
	.end_amdhsa_kernel
	.section	.text._ZN2at6native12_GLOBAL__N_143conv_depthwise3d_cuda_backward_input_kernelIffLi3ELi3ELi3ELi1ELi1ELi1ELi1ELi1ELi1EEEvN5torch10headeronly6detail27GenericPackedTensorAccessorINS5_14TensorAccessorIN3c108ArrayRefIlEEKT_Lm4ENS4_16DefaultPtrTraitsEiEENS_6detail16IndexBoundsCheckILm5EiEESC_Lm5ESD_iEENS6_INS7_ISA_SB_Lm4ESD_iEESH_SB_Lm5ESD_iEESI_iiiiiiiii,"axG",@progbits,_ZN2at6native12_GLOBAL__N_143conv_depthwise3d_cuda_backward_input_kernelIffLi3ELi3ELi3ELi1ELi1ELi1ELi1ELi1ELi1EEEvN5torch10headeronly6detail27GenericPackedTensorAccessorINS5_14TensorAccessorIN3c108ArrayRefIlEEKT_Lm4ENS4_16DefaultPtrTraitsEiEENS_6detail16IndexBoundsCheckILm5EiEESC_Lm5ESD_iEENS6_INS7_ISA_SB_Lm4ESD_iEESH_SB_Lm5ESD_iEESI_iiiiiiiii,comdat
.Lfunc_end17:
	.size	_ZN2at6native12_GLOBAL__N_143conv_depthwise3d_cuda_backward_input_kernelIffLi3ELi3ELi3ELi1ELi1ELi1ELi1ELi1ELi1EEEvN5torch10headeronly6detail27GenericPackedTensorAccessorINS5_14TensorAccessorIN3c108ArrayRefIlEEKT_Lm4ENS4_16DefaultPtrTraitsEiEENS_6detail16IndexBoundsCheckILm5EiEESC_Lm5ESD_iEENS6_INS7_ISA_SB_Lm4ESD_iEESH_SB_Lm5ESD_iEESI_iiiiiiiii, .Lfunc_end17-_ZN2at6native12_GLOBAL__N_143conv_depthwise3d_cuda_backward_input_kernelIffLi3ELi3ELi3ELi1ELi1ELi1ELi1ELi1ELi1EEEvN5torch10headeronly6detail27GenericPackedTensorAccessorINS5_14TensorAccessorIN3c108ArrayRefIlEEKT_Lm4ENS4_16DefaultPtrTraitsEiEENS_6detail16IndexBoundsCheckILm5EiEESC_Lm5ESD_iEENS6_INS7_ISA_SB_Lm4ESD_iEESH_SB_Lm5ESD_iEESI_iiiiiiiii
                                        ; -- End function
	.section	.AMDGPU.csdata,"",@progbits
; Kernel info:
; codeLenInByte = 4240
; NumSgprs: 72
; NumVgprs: 127
; ScratchSize: 0
; MemoryBound: 0
; FloatMode: 240
; IeeeMode: 1
; LDSByteSize: 0 bytes/workgroup (compile time only)
; SGPRBlocks: 8
; VGPRBlocks: 15
; NumSGPRsForWavesPerEU: 72
; NumVGPRsForWavesPerEU: 127
; Occupancy: 10
; WaveLimiterHint : 0
; COMPUTE_PGM_RSRC2:SCRATCH_EN: 0
; COMPUTE_PGM_RSRC2:USER_SGPR: 15
; COMPUTE_PGM_RSRC2:TRAP_HANDLER: 0
; COMPUTE_PGM_RSRC2:TGID_X_EN: 1
; COMPUTE_PGM_RSRC2:TGID_Y_EN: 0
; COMPUTE_PGM_RSRC2:TGID_Z_EN: 0
; COMPUTE_PGM_RSRC2:TIDIG_COMP_CNT: 0
	.section	.text._ZN2at6native12_GLOBAL__N_143conv_depthwise3d_cuda_backward_input_kernelIffLi3ELi3ELi3ELi1ELi1ELi1ELin1ELin1ELin1EEEvN5torch10headeronly6detail27GenericPackedTensorAccessorINS5_14TensorAccessorIN3c108ArrayRefIlEEKT_Lm4ENS4_16DefaultPtrTraitsEiEENS_6detail16IndexBoundsCheckILm5EiEESC_Lm5ESD_iEENS6_INS7_ISA_SB_Lm4ESD_iEESH_SB_Lm5ESD_iEESI_iiiiiiiii,"axG",@progbits,_ZN2at6native12_GLOBAL__N_143conv_depthwise3d_cuda_backward_input_kernelIffLi3ELi3ELi3ELi1ELi1ELi1ELin1ELin1ELin1EEEvN5torch10headeronly6detail27GenericPackedTensorAccessorINS5_14TensorAccessorIN3c108ArrayRefIlEEKT_Lm4ENS4_16DefaultPtrTraitsEiEENS_6detail16IndexBoundsCheckILm5EiEESC_Lm5ESD_iEENS6_INS7_ISA_SB_Lm4ESD_iEESH_SB_Lm5ESD_iEESI_iiiiiiiii,comdat
	.globl	_ZN2at6native12_GLOBAL__N_143conv_depthwise3d_cuda_backward_input_kernelIffLi3ELi3ELi3ELi1ELi1ELi1ELin1ELin1ELin1EEEvN5torch10headeronly6detail27GenericPackedTensorAccessorINS5_14TensorAccessorIN3c108ArrayRefIlEEKT_Lm4ENS4_16DefaultPtrTraitsEiEENS_6detail16IndexBoundsCheckILm5EiEESC_Lm5ESD_iEENS6_INS7_ISA_SB_Lm4ESD_iEESH_SB_Lm5ESD_iEESI_iiiiiiiii ; -- Begin function _ZN2at6native12_GLOBAL__N_143conv_depthwise3d_cuda_backward_input_kernelIffLi3ELi3ELi3ELi1ELi1ELi1ELin1ELin1ELin1EEEvN5torch10headeronly6detail27GenericPackedTensorAccessorINS5_14TensorAccessorIN3c108ArrayRefIlEEKT_Lm4ENS4_16DefaultPtrTraitsEiEENS_6detail16IndexBoundsCheckILm5EiEESC_Lm5ESD_iEENS6_INS7_ISA_SB_Lm4ESD_iEESH_SB_Lm5ESD_iEESI_iiiiiiiii
	.p2align	8
	.type	_ZN2at6native12_GLOBAL__N_143conv_depthwise3d_cuda_backward_input_kernelIffLi3ELi3ELi3ELi1ELi1ELi1ELin1ELin1ELin1EEEvN5torch10headeronly6detail27GenericPackedTensorAccessorINS5_14TensorAccessorIN3c108ArrayRefIlEEKT_Lm4ENS4_16DefaultPtrTraitsEiEENS_6detail16IndexBoundsCheckILm5EiEESC_Lm5ESD_iEENS6_INS7_ISA_SB_Lm4ESD_iEESH_SB_Lm5ESD_iEESI_iiiiiiiii,@function
_ZN2at6native12_GLOBAL__N_143conv_depthwise3d_cuda_backward_input_kernelIffLi3ELi3ELi3ELi1ELi1ELi1ELin1ELin1ELin1EEEvN5torch10headeronly6detail27GenericPackedTensorAccessorINS5_14TensorAccessorIN3c108ArrayRefIlEEKT_Lm4ENS4_16DefaultPtrTraitsEiEENS_6detail16IndexBoundsCheckILm5EiEESC_Lm5ESD_iEENS6_INS7_ISA_SB_Lm4ESD_iEESH_SB_Lm5ESD_iEESI_iiiiiiiii: ; @_ZN2at6native12_GLOBAL__N_143conv_depthwise3d_cuda_backward_input_kernelIffLi3ELi3ELi3ELi1ELi1ELi1ELin1ELin1ELin1EEEvN5torch10headeronly6detail27GenericPackedTensorAccessorINS5_14TensorAccessorIN3c108ArrayRefIlEEKT_Lm4ENS4_16DefaultPtrTraitsEiEENS_6detail16IndexBoundsCheckILm5EiEESC_Lm5ESD_iEENS6_INS7_ISA_SB_Lm4ESD_iEESH_SB_Lm5ESD_iEESI_iiiiiiiii
; %bb.0:
	s_clause 0x2
	s_load_b128 s[44:47], s[0:1], 0x38
	s_load_b32 s4, s[0:1], 0xc4
	s_load_b64 s[60:61], s[0:1], 0x48
	s_mov_b32 s6, exec_lo
	s_waitcnt lgkmcnt(0)
	s_abs_i32 s74, s45
	s_add_u32 s2, s0, 0xb8
	v_cvt_f32_u32_e32 v1, s74
	s_addc_u32 s3, s1, 0
	s_and_b32 s4, s4, 0xffff
	s_mul_i32 s62, s61, s44
	s_delay_alu instid0(SALU_CYCLE_1) | instskip(SKIP_3) | instid1(VALU_DEP_1)
	s_ashr_i32 s63, s62, 31
	v_rcp_iflag_f32_e32 v2, v1
	s_waitcnt_depctr 0xfff
	v_dual_mov_b32 v1, 0 :: v_dual_mul_f32 v4, 0x4f7ffffe, v2
	v_mad_u64_u32 v[2:3], null, s4, s15, v[0:1]
	s_delay_alu instid0(VALU_DEP_2) | instskip(NEXT) | instid1(VALU_DEP_1)
	v_cvt_u32_f32_e32 v0, v4
	v_readfirstlane_b32 s5, v0
	s_delay_alu instid0(VALU_DEP_3)
	v_cmpx_gt_i64_e64 s[62:63], v[2:3]
	s_cbranch_execz .LBB18_60
; %bb.1:
	s_load_b64 s[8:9], s[0:1], 0xa0
	s_load_b32 s2, s[2:3], 0x0
	s_clause 0x2
	s_load_b128 s[52:55], s[0:1], 0x90
	s_load_b32 s3, s[0:1], 0x7c
	s_load_b128 s[48:51], s[0:1], 0xc
                                        ; implicit-def: $vgpr130 : SGPR spill to VGPR lane
	s_sub_i32 s6, 0, s74
	s_clause 0x3
	s_load_b64 s[68:69], s[0:1], 0x1c
	s_load_b64 s[70:71], s[0:1], 0x30
	s_load_b64 s[72:73], s[0:1], 0x60
	s_load_b128 s[56:59], s[0:1], 0x50
	s_ashr_i32 s75, s45, 31
	v_mul_lo_u32 v1, s6, v0
	s_mov_b32 s76, 0
	s_delay_alu instid0(VALU_DEP_1) | instskip(SKIP_2) | instid1(VALU_DEP_2)
	v_mul_hi_u32 v1, v0, v1
	s_waitcnt lgkmcnt(0)
	v_writelane_b32 v130, s8, 0
	v_add_nc_u32_e32 v63, v0, v1
	v_writelane_b32 v130, s9, 1
	s_load_b64 s[8:9], s[0:1], 0x0
	s_ashr_i32 s1, s48, 31
	s_delay_alu instid0(SALU_CYCLE_1) | instskip(SKIP_2) | instid1(SALU_CYCLE_1)
	s_xor_b32 s1, s1, s75
	v_writelane_b32 v130, s3, 2
	s_mul_i32 s3, s6, s5
	s_mul_hi_u32 s3, s5, s3
	s_delay_alu instid0(SALU_CYCLE_1) | instskip(SKIP_3) | instid1(SALU_CYCLE_1)
	s_add_i32 s5, s5, s3
	s_abs_i32 s3, s48
	s_mul_i32 s48, s2, s4
	s_mul_hi_u32 s0, s3, s5
	s_mul_i32 s5, s0, s74
	s_delay_alu instid0(SALU_CYCLE_1)
	s_sub_i32 s3, s3, s5
	s_add_i32 s5, s0, 1
	s_sub_i32 s7, s3, s74
	s_cmp_ge_u32 s3, s74
	s_waitcnt lgkmcnt(0)
	v_writelane_b32 v130, s8, 3
	s_cselect_b32 s0, s5, s0
	s_cselect_b32 s3, s7, s3
	s_add_i32 s5, s0, 1
	s_cmp_ge_u32 s3, s74
	v_writelane_b32 v130, s9, 4
	s_cselect_b32 s0, s5, s0
	s_abs_i32 s79, s60
	s_abs_i32 s80, s47
	v_cvt_f32_u32_e32 v4, s79
	v_cvt_f32_u32_e32 v5, s80
	s_abs_i32 s81, s46
	s_abs_i32 s82, s52
	;; [unrolled: 1-line block ×3, first 2 shown]
	v_rcp_iflag_f32_e32 v4, v4
	s_abs_i32 s84, s54
	v_cvt_f32_u32_e32 v6, s81
	v_cvt_f32_u32_e32 v7, s82
	;; [unrolled: 1-line block ×4, first 2 shown]
	v_rcp_iflag_f32_e32 v5, v5
	v_rcp_iflag_f32_e32 v6, v6
	;; [unrolled: 1-line block ×5, first 2 shown]
	v_mul_f32_e32 v4, 0x4f7ffffe, v4
	s_sub_i32 s2, 0, s79
	s_sub_i32 s3, 0, s80
	;; [unrolled: 1-line block ×4, first 2 shown]
	v_mul_f32_e32 v5, 0x4f7ffffe, v5
	v_cvt_u32_f32_e32 v4, v4
	v_dual_mul_f32 v6, 0x4f7ffffe, v6 :: v_dual_mul_f32 v7, 0x4f7ffffe, v7
	s_waitcnt_depctr 0xfff
	v_dual_mul_f32 v8, 0x4f7ffffe, v8 :: v_dual_mul_f32 v9, 0x4f7ffffe, v9
	v_mul_lo_u32 v10, s2, v4
	v_cvt_u32_f32_e32 v5, v5
	v_cvt_u32_f32_e32 v6, v6
	;; [unrolled: 1-line block ×5, first 2 shown]
	s_sub_i32 s6, 0, s83
	s_sub_i32 s2, 0, s84
	v_mul_lo_u32 v11, s3, v5
	v_mul_hi_u32 v10, v4, v10
	v_mul_lo_u32 v12, s4, v6
	v_mul_lo_u32 v13, s5, v7
	;; [unrolled: 1-line block ×4, first 2 shown]
	s_xor_b32 s0, s0, s1
	s_ashr_i32 s78, s60, 31
	v_mul_hi_u32 v11, v5, v11
	v_add_nc_u32_e32 v60, v4, v10
	v_mul_hi_u32 v4, v6, v12
	v_mul_hi_u32 v10, v7, v13
	;; [unrolled: 1-line block ×4, first 2 shown]
	s_sub_i32 s85, s0, s1
	s_ashr_i32 s86, s47, 31
	v_add_nc_u32_e32 v61, v5, v11
	s_ashr_i32 s87, s46, 31
	v_add_nc_u32_e32 v62, v6, v4
	v_add_nc_u32_e32 v64, v7, v10
	;; [unrolled: 1-line block ×4, first 2 shown]
	s_ashr_i32 s88, s52, 31
	s_ashr_i32 s89, s53, 31
	;; [unrolled: 1-line block ×3, first 2 shown]
	s_branch .LBB18_3
.LBB18_2:                               ;   in Loop: Header=BB18_3 Depth=1
	s_or_b32 exec_lo, exec_lo, s92
	v_mul_lo_u32 v0, v71, s61
	v_mul_lo_u32 v4, s56, v69
	v_mul_lo_u32 v6, s57, v70
	v_mul_lo_u32 v8, s58, v68
	v_add_co_u32 v2, vcc_lo, v2, s48
	v_add_co_ci_u32_e32 v3, vcc_lo, 0, v3, vcc_lo
	v_ashrrev_i32_e32 v1, 31, v0
	v_ashrrev_i32_e32 v5, 31, v4
	;; [unrolled: 1-line block ×3, first 2 shown]
	v_mul_lo_u32 v10, s59, v67
	v_ashrrev_i32_e32 v9, 31, v8
	v_lshlrev_b64 v[0:1], 2, v[0:1]
	v_lshlrev_b64 v[4:5], 2, v[4:5]
	s_delay_alu instid0(VALU_DEP_4) | instskip(NEXT) | instid1(VALU_DEP_3)
	v_ashrrev_i32_e32 v11, 31, v10
	v_add_co_u32 v12, vcc_lo, s70, v0
	s_delay_alu instid0(VALU_DEP_4) | instskip(SKIP_1) | instid1(VALU_DEP_3)
	v_add_co_ci_u32_e32 v13, vcc_lo, s71, v1, vcc_lo
	v_lshlrev_b64 v[0:1], 2, v[6:7]
	v_add_co_u32 v6, vcc_lo, v12, v4
	s_delay_alu instid0(VALU_DEP_3) | instskip(SKIP_1) | instid1(VALU_DEP_3)
	v_add_co_ci_u32_e32 v7, vcc_lo, v13, v5, vcc_lo
	v_lshlrev_b64 v[4:5], 2, v[8:9]
	v_add_co_u32 v6, vcc_lo, v6, v0
	s_delay_alu instid0(VALU_DEP_3) | instskip(SKIP_1) | instid1(VALU_DEP_3)
	;; [unrolled: 4-line block ×3, first 2 shown]
	v_add_co_ci_u32_e32 v5, vcc_lo, v7, v5, vcc_lo
	v_cmp_le_i64_e32 vcc_lo, s[62:63], v[2:3]
	v_add_co_u32 v0, s0, v4, v0
	s_delay_alu instid0(VALU_DEP_1)
	v_add_co_ci_u32_e64 v1, s0, v5, v1, s0
	s_or_b32 s76, vcc_lo, s76
	global_store_b32 v[0:1], v74, off
	s_and_not1_b32 exec_lo, exec_lo, s76
	s_cbranch_execz .LBB18_60
.LBB18_3:                               ; =>This Loop Header: Depth=1
                                        ;     Child Loop BB18_6 Depth 2
	v_sub_nc_u32_e32 v0, 0, v2
	v_mov_b32_e32 v74, 0
	s_mov_b32 s92, exec_lo
	s_delay_alu instid0(VALU_DEP_2) | instskip(NEXT) | instid1(VALU_DEP_1)
	v_max_i32_e32 v0, v2, v0
	v_mul_hi_u32 v1, v0, v60
	s_delay_alu instid0(VALU_DEP_1) | instskip(NEXT) | instid1(VALU_DEP_1)
	v_mul_lo_u32 v4, v1, s79
	v_sub_nc_u32_e32 v0, v0, v4
	v_add_nc_u32_e32 v4, 1, v1
	s_delay_alu instid0(VALU_DEP_2) | instskip(SKIP_1) | instid1(VALU_DEP_2)
	v_subrev_nc_u32_e32 v5, s79, v0
	v_cmp_le_u32_e32 vcc_lo, s79, v0
	v_dual_cndmask_b32 v1, v1, v4 :: v_dual_cndmask_b32 v0, v0, v5
	v_ashrrev_i32_e32 v4, 31, v2
	s_delay_alu instid0(VALU_DEP_2) | instskip(NEXT) | instid1(VALU_DEP_3)
	v_add_nc_u32_e32 v5, 1, v1
	v_cmp_le_u32_e32 vcc_lo, s79, v0
	s_delay_alu instid0(VALU_DEP_3) | instskip(NEXT) | instid1(VALU_DEP_3)
	v_xor_b32_e32 v4, s78, v4
	v_cndmask_b32_e32 v0, v1, v5, vcc_lo
	s_delay_alu instid0(VALU_DEP_1) | instskip(NEXT) | instid1(VALU_DEP_1)
	v_xor_b32_e32 v0, v0, v4
	v_sub_nc_u32_e32 v1, v0, v4
	s_delay_alu instid0(VALU_DEP_1) | instskip(NEXT) | instid1(VALU_DEP_1)
	v_sub_nc_u32_e32 v0, 0, v1
	v_max_i32_e32 v0, v1, v0
	s_delay_alu instid0(VALU_DEP_1) | instskip(NEXT) | instid1(VALU_DEP_1)
	v_mul_hi_u32 v4, v0, v61
	v_mul_lo_u32 v5, v4, s80
	s_delay_alu instid0(VALU_DEP_1) | instskip(SKIP_1) | instid1(VALU_DEP_2)
	v_sub_nc_u32_e32 v0, v0, v5
	v_add_nc_u32_e32 v5, 1, v4
	v_subrev_nc_u32_e32 v6, s80, v0
	v_cmp_le_u32_e32 vcc_lo, s80, v0
	s_delay_alu instid0(VALU_DEP_3) | instskip(NEXT) | instid1(VALU_DEP_3)
	v_cndmask_b32_e32 v4, v4, v5, vcc_lo
	v_cndmask_b32_e32 v0, v0, v6, vcc_lo
	v_ashrrev_i32_e32 v5, 31, v1
	s_delay_alu instid0(VALU_DEP_3) | instskip(NEXT) | instid1(VALU_DEP_3)
	v_add_nc_u32_e32 v6, 1, v4
	v_cmp_le_u32_e32 vcc_lo, s80, v0
	s_delay_alu instid0(VALU_DEP_3) | instskip(NEXT) | instid1(VALU_DEP_3)
	v_xor_b32_e32 v5, s86, v5
	v_cndmask_b32_e32 v0, v4, v6, vcc_lo
	s_delay_alu instid0(VALU_DEP_1) | instskip(NEXT) | instid1(VALU_DEP_1)
	v_xor_b32_e32 v0, v0, v5
	v_sub_nc_u32_e32 v4, v0, v5
	s_delay_alu instid0(VALU_DEP_1) | instskip(NEXT) | instid1(VALU_DEP_1)
	v_sub_nc_u32_e32 v0, 0, v4
	v_max_i32_e32 v0, v4, v0
	s_delay_alu instid0(VALU_DEP_1) | instskip(NEXT) | instid1(VALU_DEP_1)
	v_mul_hi_u32 v5, v0, v62
	v_mul_lo_u32 v6, v5, s81
	s_delay_alu instid0(VALU_DEP_1) | instskip(SKIP_1) | instid1(VALU_DEP_2)
	v_sub_nc_u32_e32 v0, v0, v6
	v_add_nc_u32_e32 v6, 1, v5
	v_subrev_nc_u32_e32 v7, s81, v0
	v_cmp_le_u32_e32 vcc_lo, s81, v0
	s_delay_alu instid0(VALU_DEP_2) | instskip(SKIP_1) | instid1(VALU_DEP_2)
	v_dual_cndmask_b32 v5, v5, v6 :: v_dual_cndmask_b32 v0, v0, v7
	v_ashrrev_i32_e32 v6, 31, v4
	v_add_nc_u32_e32 v7, 1, v5
	s_delay_alu instid0(VALU_DEP_3) | instskip(NEXT) | instid1(VALU_DEP_3)
	v_cmp_le_u32_e32 vcc_lo, s81, v0
	v_xor_b32_e32 v6, s87, v6
	s_delay_alu instid0(VALU_DEP_3) | instskip(NEXT) | instid1(VALU_DEP_1)
	v_cndmask_b32_e32 v0, v5, v7, vcc_lo
	v_xor_b32_e32 v0, v0, v6
	s_delay_alu instid0(VALU_DEP_1) | instskip(NEXT) | instid1(VALU_DEP_1)
	v_sub_nc_u32_e32 v5, v0, v6
	v_sub_nc_u32_e32 v0, 0, v5
	s_delay_alu instid0(VALU_DEP_1) | instskip(NEXT) | instid1(VALU_DEP_1)
	v_max_i32_e32 v0, v5, v0
	v_mul_hi_u32 v6, v0, v63
	s_delay_alu instid0(VALU_DEP_1) | instskip(NEXT) | instid1(VALU_DEP_1)
	v_mul_lo_u32 v7, v6, s74
	v_sub_nc_u32_e32 v0, v0, v7
	v_add_nc_u32_e32 v7, 1, v6
	s_delay_alu instid0(VALU_DEP_2) | instskip(SKIP_1) | instid1(VALU_DEP_3)
	v_subrev_nc_u32_e32 v8, s74, v0
	v_cmp_le_u32_e32 vcc_lo, s74, v0
	v_cndmask_b32_e32 v6, v6, v7, vcc_lo
	s_delay_alu instid0(VALU_DEP_3) | instskip(SKIP_1) | instid1(VALU_DEP_3)
	v_cndmask_b32_e32 v0, v0, v8, vcc_lo
	v_ashrrev_i32_e32 v7, 31, v5
	v_add_nc_u32_e32 v8, 1, v6
	s_delay_alu instid0(VALU_DEP_3) | instskip(NEXT) | instid1(VALU_DEP_3)
	v_cmp_le_u32_e32 vcc_lo, s74, v0
	v_xor_b32_e32 v7, s75, v7
	s_delay_alu instid0(VALU_DEP_3) | instskip(SKIP_1) | instid1(VALU_DEP_2)
	v_cndmask_b32_e32 v0, v6, v8, vcc_lo
	v_mul_lo_u32 v6, v1, s60
	v_xor_b32_e32 v0, v0, v7
	s_delay_alu instid0(VALU_DEP_2) | instskip(NEXT) | instid1(VALU_DEP_2)
	v_sub_nc_u32_e32 v67, v2, v6
	v_sub_nc_u32_e32 v71, v0, v7
	v_mul_lo_u32 v7, v4, s47
	s_delay_alu instid0(VALU_DEP_2) | instskip(NEXT) | instid1(VALU_DEP_2)
	v_mul_lo_u32 v0, v71, s45
	v_sub_nc_u32_e32 v68, v1, v7
	s_delay_alu instid0(VALU_DEP_2) | instskip(SKIP_1) | instid1(VALU_DEP_2)
	v_sub_nc_u32_e32 v69, v5, v0
	v_mul_lo_u32 v5, v5, s46
	v_mul_lo_u32 v0, v69, s85
	s_delay_alu instid0(VALU_DEP_2) | instskip(NEXT) | instid1(VALU_DEP_2)
	v_sub_nc_u32_e32 v70, v4, v5
	v_add_nc_u32_e32 v8, s85, v0
	s_delay_alu instid0(VALU_DEP_1)
	v_cmpx_lt_i32_e64 v0, v8
	s_cbranch_execz .LBB18_2
; %bb.4:                                ;   in Loop: Header=BB18_3 Depth=1
	v_readlane_b32 s0, v130, 0
	v_readlane_b32 s1, v130, 1
	s_delay_alu instid0(VALU_DEP_2) | instskip(NEXT) | instid1(VALU_DEP_2)
	v_add_nc_u32_e32 v14, s0, v68
	v_add_nc_u32_e32 v7, s1, v67
	v_readlane_b32 s1, v130, 2
	s_delay_alu instid0(VALU_DEP_2) | instskip(SKIP_1) | instid1(VALU_DEP_3)
	v_add_nc_u32_e32 v5, -1, v7
	v_sub_nc_u32_e32 v1, 1, v7
	v_mul_lo_u32 v0, s1, v0
	s_delay_alu instid0(VALU_DEP_2) | instskip(NEXT) | instid1(VALU_DEP_1)
	v_max_i32_e32 v1, v5, v1
	v_mul_hi_u32 v4, v1, v66
	s_delay_alu instid0(VALU_DEP_1) | instskip(NEXT) | instid1(VALU_DEP_1)
	v_mul_lo_u32 v6, v4, s84
	v_sub_nc_u32_e32 v1, v1, v6
	v_add_nc_u32_e32 v6, 1, v4
	s_delay_alu instid0(VALU_DEP_2) | instskip(SKIP_1) | instid1(VALU_DEP_2)
	v_subrev_nc_u32_e32 v8, s84, v1
	v_cmp_le_u32_e32 vcc_lo, s84, v1
	v_dual_cndmask_b32 v4, v4, v6 :: v_dual_cndmask_b32 v1, v1, v8
	v_sub_nc_u32_e32 v9, 0, v7
	v_sub_nc_u32_e32 v10, 2, v7
	s_delay_alu instid0(VALU_DEP_3) | instskip(NEXT) | instid1(VALU_DEP_4)
	v_add_nc_u32_e32 v8, 1, v4
	v_cmp_le_u32_e32 vcc_lo, s84, v1
	v_ashrrev_i32_e32 v1, 31, v0
	v_max_i32_e32 v9, v7, v9
	s_delay_alu instid0(VALU_DEP_4) | instskip(SKIP_4) | instid1(VALU_DEP_4)
	v_cndmask_b32_e32 v4, v4, v8, vcc_lo
	v_add_nc_u32_e32 v8, -2, v7
	v_ashrrev_i32_e32 v6, 31, v5
	v_lshlrev_b64 v[0:1], 2, v[0:1]
	v_mul_hi_u32 v11, v9, v66
	v_max_i32_e32 v10, v8, v10
	s_delay_alu instid0(VALU_DEP_4) | instskip(NEXT) | instid1(VALU_DEP_4)
	v_xor_b32_e32 v6, s90, v6
	v_add_co_u32 v0, vcc_lo, s72, v0
	s_delay_alu instid0(VALU_DEP_3) | instskip(NEXT) | instid1(VALU_DEP_3)
	v_mul_hi_u32 v12, v10, v66
	v_xor_b32_e32 v4, v4, v6
	v_add_co_ci_u32_e32 v1, vcc_lo, s73, v1, vcc_lo
	v_mul_lo_u32 v13, v11, s84
	s_delay_alu instid0(VALU_DEP_3) | instskip(NEXT) | instid1(VALU_DEP_1)
	v_sub_nc_u32_e32 v4, v4, v6
	v_mul_lo_u32 v6, v4, s54
	v_cmp_gt_i32_e64 s43, s51, v4
	s_delay_alu instid0(VALU_DEP_2) | instskip(SKIP_3) | instid1(VALU_DEP_2)
	v_cmp_eq_u32_e32 vcc_lo, v6, v5
	v_mul_lo_u32 v5, v12, s84
	v_sub_nc_u32_e32 v6, v9, v13
	v_add_nc_u32_e32 v9, -1, v14
	v_cmp_le_u32_e64 s0, s84, v6
	s_delay_alu instid0(VALU_DEP_4) | instskip(SKIP_1) | instid1(VALU_DEP_1)
	v_sub_nc_u32_e32 v5, v10, v5
	v_sub_nc_u32_e32 v10, 1, v14
	v_max_i32_e32 v10, v9, v10
	s_delay_alu instid0(VALU_DEP_1) | instskip(NEXT) | instid1(VALU_DEP_1)
	v_mul_hi_u32 v13, v10, v65
	v_mul_lo_u32 v15, v13, s83
	s_delay_alu instid0(VALU_DEP_1) | instskip(SKIP_1) | instid1(VALU_DEP_1)
	v_sub_nc_u32_e32 v10, v10, v15
	v_subrev_nc_u32_e32 v15, s84, v6
	v_cndmask_b32_e64 v6, v6, v15, s0
	v_add_nc_u32_e32 v15, 1, v11
	s_delay_alu instid0(VALU_DEP_1) | instskip(SKIP_2) | instid1(VALU_DEP_1)
	v_cndmask_b32_e64 v11, v11, v15, s0
	v_subrev_nc_u32_e32 v15, s84, v5
	v_cmp_le_u32_e64 s0, s84, v5
	v_cndmask_b32_e64 v5, v5, v15, s0
	v_add_nc_u32_e32 v15, 1, v12
	s_delay_alu instid0(VALU_DEP_1) | instskip(SKIP_2) | instid1(VALU_DEP_1)
	v_cndmask_b32_e64 v12, v12, v15, s0
	v_subrev_nc_u32_e32 v15, s83, v10
	v_cmp_le_u32_e64 s0, s83, v10
	v_cndmask_b32_e64 v10, v10, v15, s0
	v_add_nc_u32_e32 v15, 1, v13
	s_delay_alu instid0(VALU_DEP_1) | instskip(SKIP_2) | instid1(VALU_DEP_1)
	v_cndmask_b32_e64 v13, v13, v15, s0
	v_add_nc_u32_e32 v15, 1, v11
	v_cmp_le_u32_e64 s0, s84, v6
	v_cndmask_b32_e64 v6, v11, v15, s0
	v_add_nc_u32_e32 v11, 1, v12
	v_cmp_le_u32_e64 s0, s84, v5
	s_delay_alu instid0(VALU_DEP_1) | instskip(SKIP_4) | instid1(VALU_DEP_4)
	v_cndmask_b32_e64 v5, v12, v11, s0
	v_ashrrev_i32_e32 v11, 31, v7
	v_cmp_le_u32_e64 s0, s83, v10
	v_sub_nc_u32_e32 v10, 0, v14
	v_ashrrev_i32_e32 v12, 31, v9
	v_xor_b32_e32 v11, s90, v11
	s_delay_alu instid0(VALU_DEP_3) | instskip(NEXT) | instid1(VALU_DEP_3)
	v_max_i32_e32 v10, v14, v10
	v_xor_b32_e32 v12, s89, v12
	s_delay_alu instid0(VALU_DEP_3) | instskip(NEXT) | instid1(VALU_DEP_1)
	v_xor_b32_e32 v6, v6, v11
	v_sub_nc_u32_e32 v6, v6, v11
	v_ashrrev_i32_e32 v11, 31, v8
	s_delay_alu instid0(VALU_DEP_2) | instskip(NEXT) | instid1(VALU_DEP_2)
	v_cmp_gt_i32_e64 s42, s51, v6
	v_xor_b32_e32 v11, s90, v11
	s_delay_alu instid0(VALU_DEP_1) | instskip(NEXT) | instid1(VALU_DEP_1)
	v_xor_b32_e32 v5, v5, v11
	v_sub_nc_u32_e32 v5, v5, v11
	v_mul_lo_u32 v11, v6, s54
	s_delay_alu instid0(VALU_DEP_2) | instskip(NEXT) | instid1(VALU_DEP_2)
	v_cmp_gt_i32_e64 s44, s51, v5
	v_cmp_eq_u32_e64 s1, v11, v7
	v_mul_lo_u32 v11, v5, s54
	v_add_nc_u32_e32 v7, 1, v13
	s_delay_alu instid0(VALU_DEP_1) | instskip(NEXT) | instid1(VALU_DEP_3)
	v_cndmask_b32_e64 v7, v13, v7, s0
	v_cmp_eq_u32_e64 s0, v11, v8
	v_mul_hi_u32 v8, v10, v65
	s_delay_alu instid0(VALU_DEP_3) | instskip(NEXT) | instid1(VALU_DEP_1)
	v_xor_b32_e32 v7, v7, v12
	v_sub_nc_u32_e32 v7, v7, v12
	s_delay_alu instid0(VALU_DEP_3) | instskip(NEXT) | instid1(VALU_DEP_2)
	v_mul_lo_u32 v11, v8, s83
	v_mul_lo_u32 v12, v7, s53
	v_cmp_gt_i32_e64 s34, s50, v7
	s_delay_alu instid0(VALU_DEP_3) | instskip(SKIP_1) | instid1(VALU_DEP_4)
	v_sub_nc_u32_e32 v10, v10, v11
	v_add_nc_u32_e32 v11, -2, v14
	v_cmp_eq_u32_e64 s8, v12, v9
	s_delay_alu instid0(VALU_DEP_3) | instskip(SKIP_2) | instid1(VALU_DEP_2)
	v_subrev_nc_u32_e32 v9, s83, v10
	v_sub_nc_u32_e32 v12, 2, v14
	v_cmp_le_u32_e64 s2, s83, v10
	v_max_i32_e32 v12, v11, v12
	s_delay_alu instid0(VALU_DEP_2) | instskip(SKIP_1) | instid1(VALU_DEP_1)
	v_cndmask_b32_e64 v9, v10, v9, s2
	v_add_nc_u32_e32 v10, 1, v8
	v_cndmask_b32_e64 v8, v8, v10, s2
	s_delay_alu instid0(VALU_DEP_4) | instskip(NEXT) | instid1(VALU_DEP_4)
	v_mul_hi_u32 v10, v12, v65
	v_cmp_le_u32_e64 s2, s83, v9
	s_delay_alu instid0(VALU_DEP_2) | instskip(NEXT) | instid1(VALU_DEP_1)
	v_mul_lo_u32 v13, v10, s83
	v_sub_nc_u32_e32 v12, v12, v13
	v_add_nc_u32_e32 v13, 1, v8
	s_delay_alu instid0(VALU_DEP_2) | instskip(NEXT) | instid1(VALU_DEP_2)
	v_subrev_nc_u32_e32 v9, s83, v12
	v_cndmask_b32_e64 v8, v8, v13, s2
	v_cmp_le_u32_e64 s2, s83, v12
	s_delay_alu instid0(VALU_DEP_1) | instskip(SKIP_1) | instid1(VALU_DEP_1)
	v_cndmask_b32_e64 v12, v12, v9, s2
	v_add_nc_u32_e32 v9, 1, v10
	v_cndmask_b32_e64 v10, v10, v9, s2
	v_ashrrev_i32_e32 v9, 31, v14
	s_delay_alu instid0(VALU_DEP_4) | instskip(SKIP_1) | instid1(VALU_DEP_3)
	v_cmp_le_u32_e64 s2, s83, v12
	v_ashrrev_i32_e32 v12, 31, v11
	v_xor_b32_e32 v9, s89, v9
	s_delay_alu instid0(VALU_DEP_1) | instskip(NEXT) | instid1(VALU_DEP_1)
	v_xor_b32_e32 v8, v8, v9
	v_sub_nc_u32_e32 v9, v8, v9
	v_add_nc_u32_e32 v8, 1, v10
	s_delay_alu instid0(VALU_DEP_2) | instskip(NEXT) | instid1(VALU_DEP_2)
	v_cmp_gt_i32_e64 s37, s50, v9
	v_cndmask_b32_e64 v8, v10, v8, s2
	v_xor_b32_e32 v10, s89, v12
	v_mul_lo_u32 v12, v9, s53
	s_delay_alu instid0(VALU_DEP_4) | instskip(SKIP_1) | instid1(VALU_DEP_2)
	s_and_b32 s91, s43, s37
	s_and_b32 s66, s44, s37
	v_xor_b32_e32 v8, v8, v10
	s_and_b32 s65, s42, s37
	s_delay_alu instid0(VALU_DEP_2) | instskip(NEXT) | instid1(VALU_DEP_2)
	v_cmp_eq_u32_e64 s19, v12, v14
	v_sub_nc_u32_e32 v8, v8, v10
	v_add_nc_u32_e32 v12, s55, v70
	s_delay_alu instid0(VALU_DEP_2) | instskip(NEXT) | instid1(VALU_DEP_2)
	v_mul_lo_u32 v10, v8, s53
	v_add_nc_u32_e32 v13, -1, v12
	v_cmp_gt_i32_e64 s29, s50, v8
	s_delay_alu instid0(VALU_DEP_3) | instskip(NEXT) | instid1(VALU_DEP_3)
	v_cmp_eq_u32_e64 s24, v10, v11
	v_sub_nc_u32_e32 v10, 0, v13
	s_delay_alu instid0(VALU_DEP_1) | instskip(NEXT) | instid1(VALU_DEP_1)
	v_max_i32_e32 v10, v13, v10
	v_mul_hi_u32 v11, v10, v64
	s_delay_alu instid0(VALU_DEP_1) | instskip(NEXT) | instid1(VALU_DEP_1)
	v_mul_lo_u32 v14, v11, s82
	v_sub_nc_u32_e32 v10, v10, v14
	s_delay_alu instid0(VALU_DEP_1) | instskip(SKIP_1) | instid1(VALU_DEP_1)
	v_subrev_nc_u32_e32 v14, s82, v10
	v_cmp_le_u32_e64 s2, s82, v10
	v_cndmask_b32_e64 v10, v10, v14, s2
	v_add_nc_u32_e32 v14, 1, v11
	s_delay_alu instid0(VALU_DEP_1) | instskip(NEXT) | instid1(VALU_DEP_3)
	v_cndmask_b32_e64 v11, v11, v14, s2
	v_cmp_le_u32_e64 s2, s82, v10
	s_delay_alu instid0(VALU_DEP_2) | instskip(NEXT) | instid1(VALU_DEP_1)
	v_add_nc_u32_e32 v14, 1, v11
	v_cndmask_b32_e64 v10, v11, v14, s2
	v_ashrrev_i32_e32 v11, 31, v13
	s_delay_alu instid0(VALU_DEP_1) | instskip(NEXT) | instid1(VALU_DEP_1)
	v_xor_b32_e32 v11, s88, v11
	v_xor_b32_e32 v10, v10, v11
	s_delay_alu instid0(VALU_DEP_1) | instskip(NEXT) | instid1(VALU_DEP_1)
	v_sub_nc_u32_e32 v10, v10, v11
	v_mul_lo_u32 v11, v10, s52
	v_cmp_gt_i32_e64 s38, s49, v10
	s_delay_alu instid0(VALU_DEP_2) | instskip(SKIP_1) | instid1(VALU_DEP_1)
	v_cmp_eq_u32_e64 s18, v11, v13
	v_sub_nc_u32_e32 v11, 0, v12
	v_max_i32_e32 v11, v12, v11
	s_delay_alu instid0(VALU_DEP_1) | instskip(NEXT) | instid1(VALU_DEP_1)
	v_mul_hi_u32 v13, v11, v64
	v_mul_lo_u32 v14, v13, s82
	s_delay_alu instid0(VALU_DEP_1) | instskip(NEXT) | instid1(VALU_DEP_1)
	v_sub_nc_u32_e32 v11, v11, v14
	v_subrev_nc_u32_e32 v14, s82, v11
	v_cmp_le_u32_e64 s2, s82, v11
	s_delay_alu instid0(VALU_DEP_1) | instskip(SKIP_1) | instid1(VALU_DEP_1)
	v_cndmask_b32_e64 v11, v11, v14, s2
	v_add_nc_u32_e32 v14, 1, v13
	v_cndmask_b32_e64 v13, v13, v14, s2
	s_delay_alu instid0(VALU_DEP_3) | instskip(NEXT) | instid1(VALU_DEP_2)
	v_cmp_le_u32_e64 s2, s82, v11
	v_add_nc_u32_e32 v14, 1, v13
	s_delay_alu instid0(VALU_DEP_1) | instskip(SKIP_1) | instid1(VALU_DEP_1)
	v_cndmask_b32_e64 v11, v13, v14, s2
	v_ashrrev_i32_e32 v13, 31, v12
	v_xor_b32_e32 v13, s88, v13
	s_delay_alu instid0(VALU_DEP_1) | instskip(NEXT) | instid1(VALU_DEP_1)
	v_xor_b32_e32 v11, v11, v13
	v_sub_nc_u32_e32 v13, v11, v13
	s_delay_alu instid0(VALU_DEP_1) | instskip(SKIP_1) | instid1(VALU_DEP_2)
	v_mul_lo_u32 v11, v13, s52
	v_cmp_gt_i32_e64 s36, s49, v13
	v_cmp_eq_u32_e64 s9, v11, v12
	v_add_nc_u32_e32 v11, -2, v12
	s_delay_alu instid0(VALU_DEP_2) | instskip(NEXT) | instid1(VALU_DEP_1)
	s_and_b32 s64, s9, s19
	v_sub_nc_u32_e32 v12, 0, v11
	s_delay_alu instid0(VALU_DEP_1) | instskip(NEXT) | instid1(VALU_DEP_1)
	v_max_i32_e32 v12, v11, v12
	v_mul_hi_u32 v14, v12, v64
	s_delay_alu instid0(VALU_DEP_1) | instskip(NEXT) | instid1(VALU_DEP_1)
	v_mul_lo_u32 v15, v14, s82
	v_sub_nc_u32_e32 v12, v12, v15
	s_delay_alu instid0(VALU_DEP_1) | instskip(SKIP_1) | instid1(VALU_DEP_1)
	v_subrev_nc_u32_e32 v15, s82, v12
	v_cmp_le_u32_e64 s2, s82, v12
	v_cndmask_b32_e64 v12, v12, v15, s2
	v_add_nc_u32_e32 v15, 1, v14
	s_delay_alu instid0(VALU_DEP_1) | instskip(NEXT) | instid1(VALU_DEP_3)
	v_cndmask_b32_e64 v14, v14, v15, s2
	v_cmp_le_u32_e64 s2, s82, v12
	s_delay_alu instid0(VALU_DEP_2) | instskip(NEXT) | instid1(VALU_DEP_1)
	v_add_nc_u32_e32 v15, 1, v14
	v_cndmask_b32_e64 v12, v14, v15, s2
	v_ashrrev_i32_e32 v14, 31, v11
	v_readlane_b32 s2, v130, 3
	v_readlane_b32 s3, v130, 4
	s_delay_alu instid0(VALU_DEP_3) | instskip(NEXT) | instid1(VALU_DEP_1)
	v_xor_b32_e32 v14, s88, v14
	v_xor_b32_e32 v12, v12, v14
	s_delay_alu instid0(VALU_DEP_1) | instskip(NEXT) | instid1(VALU_DEP_1)
	v_sub_nc_u32_e32 v14, v12, v14
	v_mul_lo_u32 v12, v14, s52
	v_cmp_gt_i32_e64 s28, s49, v14
	s_delay_alu instid0(VALU_DEP_2) | instskip(SKIP_1) | instid1(VALU_DEP_1)
	v_cmp_eq_u32_e64 s27, v12, v11
	v_mul_lo_u32 v11, s68, v71
	v_ashrrev_i32_e32 v12, 31, v11
	s_delay_alu instid0(VALU_DEP_1) | instskip(NEXT) | instid1(VALU_DEP_1)
	v_lshlrev_b64 v[11:12], 2, v[11:12]
	v_add_co_u32 v72, s2, s2, v11
	v_or_b32_e32 v11, v6, v9
	s_delay_alu instid0(VALU_DEP_3) | instskip(NEXT) | instid1(VALU_DEP_2)
	v_add_co_ci_u32_e64 v73, s2, s3, v12, s2
	v_or_b32_e32 v12, v11, v13
	s_delay_alu instid0(VALU_DEP_1) | instskip(SKIP_1) | instid1(VALU_DEP_2)
	v_cmp_lt_i32_e64 s2, -1, v12
	v_or_b32_e32 v12, v4, v9
	s_and_b32 s2, s42, s2
	s_delay_alu instid0(VALU_DEP_1) | instskip(SKIP_1) | instid1(SALU_CYCLE_1)
	v_or_b32_e32 v15, v12, v13
	s_and_b32 s2, s2, s37
	s_and_b32 s93, s2, s36
	s_delay_alu instid0(VALU_DEP_1) | instskip(SKIP_1) | instid1(VALU_DEP_2)
	v_cmp_lt_i32_e64 s3, -1, v15
	v_or_b32_e32 v15, v5, v9
	s_and_b32 s2, s43, s3
	s_delay_alu instid0(VALU_DEP_1) | instskip(SKIP_3) | instid1(VALU_DEP_1)
	v_or_b32_e32 v16, v15, v13
	s_and_b32 s3, s2, s37
	s_and_b32 s2, s64, s1
	;; [unrolled: 1-line block ×3, first 2 shown]
	v_cmp_lt_i32_e64 s4, -1, v16
	v_or_b32_e32 v16, v6, v7
	s_delay_alu instid0(VALU_DEP_2) | instskip(NEXT) | instid1(VALU_DEP_1)
	s_and_b32 s3, s44, s4
	v_or_b32_e32 v17, v16, v13
	s_and_b32 s4, s3, s37
	s_and_b32 s3, s64, vcc_lo
	s_and_b32 s95, s4, s36
	s_and_b32 s4, s64, s0
	v_cmp_lt_i32_e64 s5, -1, v17
	v_or_b32_e32 v17, v4, v7
	s_and_b32 s64, s9, s8
	s_delay_alu instid0(VALU_DEP_2) | instskip(NEXT) | instid1(VALU_DEP_1)
	s_and_b32 s5, s42, s5
	v_or_b32_e32 v18, v17, v13
	s_and_b32 s5, s5, s34
	s_delay_alu instid0(SALU_CYCLE_1) | instskip(NEXT) | instid1(VALU_DEP_1)
	s_and_b32 s96, s5, s36
	v_cmp_lt_i32_e64 s6, -1, v18
	v_or_b32_e32 v18, v5, v7
	s_delay_alu instid0(VALU_DEP_2) | instskip(NEXT) | instid1(VALU_DEP_1)
	s_and_b32 s5, s43, s6
	v_or_b32_e32 v19, v18, v13
	s_and_b32 s6, s5, s34
	s_and_b32 s5, s64, s1
	;; [unrolled: 1-line block ×3, first 2 shown]
	s_delay_alu instid0(VALU_DEP_1) | instskip(SKIP_1) | instid1(VALU_DEP_2)
	v_cmp_lt_i32_e64 s7, -1, v19
	v_or_b32_e32 v19, v6, v8
	s_and_b32 s6, s44, s7
	s_delay_alu instid0(VALU_DEP_1)
	v_or_b32_e32 v20, v19, v13
	s_and_b32 s7, s6, s34
	s_and_b32 s6, s64, vcc_lo
	s_and_b32 s98, s7, s36
	s_and_b32 s7, s64, s0
	v_cmp_lt_i32_e64 s10, -1, v20
	v_or_b32_e32 v20, v4, v8
	s_and_b32 s64, s9, s24
	s_delay_alu instid0(VALU_DEP_2) | instskip(NEXT) | instid1(VALU_DEP_1)
	s_and_b32 s10, s42, s10
	v_or_b32_e32 v21, v20, v13
	s_and_b32 s10, s10, s29
	s_delay_alu instid0(SALU_CYCLE_1) | instskip(NEXT) | instid1(VALU_DEP_1)
	s_and_b32 s99, s10, s36
	v_cmp_lt_i32_e64 s11, -1, v21
	v_or_b32_e32 v21, v5, v8
	s_delay_alu instid0(VALU_DEP_2) | instskip(NEXT) | instid1(VALU_DEP_1)
	s_and_b32 s9, s43, s11
	v_or_b32_e32 v22, v21, v13
	s_and_b32 s10, s9, s29
	s_and_b32 s9, s64, s1
	;; [unrolled: 1-line block ×3, first 2 shown]
	s_delay_alu instid0(VALU_DEP_1) | instskip(SKIP_2) | instid1(VALU_DEP_3)
	v_cmp_lt_i32_e64 s35, -1, v22
	v_or_b32_e32 v22, v11, v10
	v_or_b32_e32 v11, v11, v14
	s_and_b32 s10, s44, s35
	s_delay_alu instid0(VALU_DEP_2) | instskip(SKIP_1) | instid1(VALU_DEP_3)
	v_cmp_lt_i32_e64 s31, -1, v22
	v_or_b32_e32 v22, v12, v10
	v_cmp_lt_i32_e64 s22, -1, v11
	v_or_b32_e32 v11, v12, v14
	v_or_b32_e32 v12, v19, v14
	s_and_b32 s11, s10, s29
	v_cmp_lt_i32_e64 s12, -1, v22
	v_or_b32_e32 v22, v15, v10
	v_cmp_lt_i32_e64 s23, -1, v11
	v_or_b32_e32 v11, v15, v14
	v_or_b32_e32 v15, v21, v14
	s_and_b32 s10, s64, vcc_lo
	v_cmp_lt_i32_e64 s13, -1, v22
	v_or_b32_e32 v22, v16, v10
	v_cmp_lt_i32_e64 s25, -1, v11
	v_or_b32_e32 v11, v16, v14
	s_and_b32 s35, s11, s36
	s_and_b32 s11, s64, s0
	v_cmp_lt_i32_e64 s14, -1, v22
	v_or_b32_e32 v22, v17, v10
	v_cmp_lt_i32_e64 s26, -1, v11
	v_or_b32_e32 v11, v17, v14
	s_and_b32 s64, s18, s19
	s_and_b32 s67, s42, s14
	v_cmp_lt_i32_e64 s15, -1, v22
	v_or_b32_e32 v22, v18, v10
	v_cmp_lt_i32_e64 s30, -1, v11
	v_or_b32_e32 v11, v18, v14
	s_and_b32 s36, s91, s12
	s_and_b32 s12, s64, s1
	v_cmp_lt_i32_e64 s16, -1, v22
	v_or_b32_e32 v22, v19, v10
	v_cmp_lt_i32_e64 s33, -1, v11
	v_mul_lo_u32 v11, v13, s50
	v_or_b32_e32 v13, v20, v14
	v_mul_lo_u32 v14, v14, s50
	v_cmp_lt_i32_e64 s17, -1, v22
	v_or_b32_e32 v22, v20, v10
	s_and_b32 s37, s66, s13
	s_and_b32 s13, s64, vcc_lo
	s_and_b32 s14, s64, s0
	v_add_nc_u32_e32 v16, v9, v11
	v_cmp_lt_i32_e64 s21, -1, v22
	v_or_b32_e32 v22, v21, v10
	v_mul_lo_u32 v10, v10, s50
	v_add_nc_u32_e32 v17, v7, v11
	v_add_nc_u32_e32 v18, v8, v11
	;; [unrolled: 1-line block ×5, first 2 shown]
	v_mul_lo_u32 v11, v16, s51
	v_mul_lo_u32 v17, v17, s51
	v_add_nc_u32_e32 v23, v9, v10
	v_add_nc_u32_e32 v29, v7, v10
	;; [unrolled: 1-line block ×3, first 2 shown]
	v_mul_lo_u32 v24, v18, s51
	v_mul_lo_u32 v48, v41, s51
	v_mul_lo_u32 v30, v23, s51
	v_mul_lo_u32 v36, v29, s51
	v_mul_lo_u32 v42, v35, s51
	v_mul_lo_u32 v54, v47, s51
	v_mul_lo_u32 v58, v53, s51
	s_and_b32 s64, s67, s34
	s_and_b32 s15, s43, s15
	;; [unrolled: 1-line block ×8, first 2 shown]
	v_cmp_lt_i32_e64 s20, -1, v22
	v_cmp_lt_i32_e64 s40, -1, v13
	;; [unrolled: 1-line block ×3, first 2 shown]
	v_add_nc_u32_e32 v7, v6, v11
	v_add_nc_u32_e32 v9, v4, v11
	;; [unrolled: 1-line block ×12, first 2 shown]
	s_and_b32 s67, s18, s8
	v_add_nc_u32_e32 v31, v6, v36
	v_add_nc_u32_e32 v33, v4, v36
	s_and_b32 s103, s64, s38
	v_add_nc_u32_e32 v35, v5, v36
	s_and_b32 s64, s42, s17
	v_add_nc_u32_e32 v37, v6, v42
	v_add_nc_u32_e32 v39, v4, v42
	v_add_nc_u32_e32 v41, v5, v42
	s_and_b32 s77, s22, s28
	v_add_nc_u32_e32 v43, v6, v48
	s_and_b32 s22, s91, s23
	v_add_nc_u32_e32 v45, v4, v48
	s_and_b32 s23, s66, s25
	v_add_nc_u32_e32 v47, v5, v48
	s_and_b32 s25, s42, s26
	v_add_nc_u32_e32 v49, v6, v54
	v_add_nc_u32_e32 v51, v4, v54
	v_add_nc_u32_e32 v53, v5, v54
	;; [unrolled: 1-line block ×4, first 2 shown]
	s_and_b32 s31, s65, s31
	s_and_b32 s15, s67, s1
	s_and_b32 s16, s67, vcc_lo
	s_and_b32 s17, s67, s0
	s_and_b32 s64, s64, s29
	;; [unrolled: 1-line block ×8, first 2 shown]
	v_add_nc_u32_e32 v74, v5, v58
	v_cmp_lt_i32_e64 s39, -1, v12
	s_and_b32 s104, s64, s38
	s_and_b32 s21, s18, s29
	;; [unrolled: 1-line block ×5, first 2 shown]
	s_and_b32 s22, s65, vcc_lo
	s_and_b32 s64, s23, s28
	s_and_b32 s23, s65, s0
	;; [unrolled: 1-line block ×4, first 2 shown]
	v_ashrrev_i32_e32 v8, 31, v7
	v_ashrrev_i32_e32 v10, 31, v9
	;; [unrolled: 1-line block ×26, first 2 shown]
	s_and_b32 vcc_hi, s21, s38
	s_and_b32 s21, s20, s29
	s_and_b32 s30, s25, s28
	;; [unrolled: 1-line block ×4, first 2 shown]
	v_ashrrev_i32_e32 v75, 31, v74
	s_and_b32 s31, s31, s38
	s_and_b32 s36, s36, s38
	;; [unrolled: 1-line block ×4, first 2 shown]
	s_and_b32 s20, s67, vcc_lo
	s_and_b32 s38, s21, s38
	s_and_b32 s21, s67, s0
	;; [unrolled: 1-line block ×4, first 2 shown]
	s_and_b32 s25, s26, vcc_lo
	s_and_b32 s34, s42, s39
	s_and_b32 s26, s26, s0
	;; [unrolled: 1-line block ×3, first 2 shown]
	s_and_b32 vcc_lo, s24, vcc_lo
	s_and_b32 s0, s24, s0
	s_mul_i32 s24, s69, s85
	s_and_b32 s34, s34, s29
	v_lshlrev_b64 v[4:5], 2, v[7:8]
	v_lshlrev_b64 v[6:7], 2, v[9:10]
	;; [unrolled: 1-line block ×26, first 2 shown]
	v_mul_lo_u32 v58, s24, v69
	s_and_b32 s27, s34, s28
	s_and_b32 s34, s43, s40
	;; [unrolled: 1-line block ×3, first 2 shown]
	v_lshlrev_b64 v[56:57], 2, v[74:75]
	v_mov_b32_e32 v74, 0
	s_and_b32 s34, s34, s29
	s_and_b32 s29, s39, s29
	;; [unrolled: 1-line block ×5, first 2 shown]
	s_mov_b32 s29, s85
	s_branch .LBB18_6
.LBB18_5:                               ;   in Loop: Header=BB18_6 Depth=2
	s_or_b32 exec_lo, exec_lo, s39
	s_waitcnt vmcnt(26)
	v_fma_f32 v59, v75, v59, v74
	v_add_co_u32 v0, s24, 0x6c, v0
	s_delay_alu instid0(VALU_DEP_1) | instskip(NEXT) | instid1(VALU_DEP_3)
	v_add_co_ci_u32_e64 v1, s24, 0, v1, s24
	v_cndmask_b32_e64 v59, v74, v59, s2
	v_add_nc_u32_e32 v58, s69, v58
	s_add_i32 s29, s29, -1
	s_delay_alu instid0(SALU_CYCLE_1) | instskip(SKIP_2) | instid1(VALU_DEP_1)
	s_cmp_eq_u32 s29, 0
	s_waitcnt vmcnt(25)
	v_fma_f32 v74, v78, v80, v59
	v_cndmask_b32_e64 v59, v59, v74, s3
	s_waitcnt vmcnt(24)
	s_delay_alu instid0(VALU_DEP_1) | instskip(NEXT) | instid1(VALU_DEP_1)
	v_fma_f32 v74, v81, v79, v59
	v_cndmask_b32_e64 v59, v59, v74, s4
	s_waitcnt vmcnt(23)
	s_delay_alu instid0(VALU_DEP_1) | instskip(NEXT) | instid1(VALU_DEP_1)
	;; [unrolled: 4-line block ×24, first 2 shown]
	v_fma_f32 v74, v126, v128, v59
	v_cndmask_b32_e32 v59, v59, v74, vcc_lo
	s_waitcnt vmcnt(0)
	s_delay_alu instid0(VALU_DEP_1) | instskip(NEXT) | instid1(VALU_DEP_1)
	v_fma_f32 v74, v129, v127, v59
	v_cndmask_b32_e64 v74, v59, v74, s0
	s_cbranch_scc1 .LBB18_2
.LBB18_6:                               ;   Parent Loop BB18_3 Depth=1
                                        ; =>  This Inner Loop Header: Depth=2
	global_load_b32 v75, v[0:1], off
	v_ashrrev_i32_e32 v59, 31, v58
	s_delay_alu instid0(VALU_DEP_1) | instskip(SKIP_1) | instid1(VALU_DEP_2)
	v_lshlrev_b64 v[76:77], 2, v[58:59]
	v_mov_b32_e32 v59, 0
	v_add_co_u32 v76, s24, v72, v76
	s_delay_alu instid0(VALU_DEP_1)
	v_add_co_ci_u32_e64 v77, s24, v73, v77, s24
	s_and_saveexec_b32 s39, s93
	s_cbranch_execz .LBB18_8
; %bb.7:                                ;   in Loop: Header=BB18_6 Depth=2
	s_delay_alu instid0(VALU_DEP_2) | instskip(NEXT) | instid1(VALU_DEP_1)
	v_add_co_u32 v78, s24, v76, v4
	v_add_co_ci_u32_e64 v79, s24, v77, v5, s24
	global_load_b32 v59, v[78:79], off
.LBB18_8:                               ;   in Loop: Header=BB18_6 Depth=2
	s_or_b32 exec_lo, exec_lo, s39
	global_load_b32 v78, v[0:1], off offset:4
	v_dual_mov_b32 v79, 0 :: v_dual_mov_b32 v80, 0
	s_and_saveexec_b32 s39, s94
	s_cbranch_execz .LBB18_10
; %bb.9:                                ;   in Loop: Header=BB18_6 Depth=2
	v_add_co_u32 v80, s24, v76, v6
	s_delay_alu instid0(VALU_DEP_1)
	v_add_co_ci_u32_e64 v81, s24, v77, v7, s24
	global_load_b32 v80, v[80:81], off
.LBB18_10:                              ;   in Loop: Header=BB18_6 Depth=2
	s_or_b32 exec_lo, exec_lo, s39
	global_load_b32 v81, v[0:1], off offset:8
	s_and_saveexec_b32 s39, s95
	s_cbranch_execz .LBB18_12
; %bb.11:                               ;   in Loop: Header=BB18_6 Depth=2
	v_add_co_u32 v82, s24, v76, v8
	s_delay_alu instid0(VALU_DEP_1)
	v_add_co_ci_u32_e64 v83, s24, v77, v9, s24
	global_load_b32 v79, v[82:83], off
.LBB18_12:                              ;   in Loop: Header=BB18_6 Depth=2
	s_or_b32 exec_lo, exec_lo, s39
	global_load_b32 v82, v[0:1], off offset:12
	v_dual_mov_b32 v83, 0 :: v_dual_mov_b32 v84, 0
	s_and_saveexec_b32 s39, s96
	s_cbranch_execz .LBB18_14
; %bb.13:                               ;   in Loop: Header=BB18_6 Depth=2
	v_add_co_u32 v84, s24, v76, v10
	s_delay_alu instid0(VALU_DEP_1)
	v_add_co_ci_u32_e64 v85, s24, v77, v11, s24
	global_load_b32 v84, v[84:85], off
.LBB18_14:                              ;   in Loop: Header=BB18_6 Depth=2
	s_or_b32 exec_lo, exec_lo, s39
	global_load_b32 v85, v[0:1], off offset:16
	s_and_saveexec_b32 s39, s97
	s_cbranch_execz .LBB18_16
; %bb.15:                               ;   in Loop: Header=BB18_6 Depth=2
	v_add_co_u32 v86, s24, v76, v12
	s_delay_alu instid0(VALU_DEP_1)
	v_add_co_ci_u32_e64 v87, s24, v77, v13, s24
	global_load_b32 v83, v[86:87], off
.LBB18_16:                              ;   in Loop: Header=BB18_6 Depth=2
	s_or_b32 exec_lo, exec_lo, s39
	global_load_b32 v86, v[0:1], off offset:20
	v_dual_mov_b32 v87, 0 :: v_dual_mov_b32 v88, 0
	s_and_saveexec_b32 s39, s98
	s_cbranch_execz .LBB18_18
; %bb.17:                               ;   in Loop: Header=BB18_6 Depth=2
	v_add_co_u32 v88, s24, v76, v14
	s_delay_alu instid0(VALU_DEP_1)
	v_add_co_ci_u32_e64 v89, s24, v77, v15, s24
	global_load_b32 v88, v[88:89], off
.LBB18_18:                              ;   in Loop: Header=BB18_6 Depth=2
	;; [unrolled: 21-line block ×7, first 2 shown]
	s_or_b32 exec_lo, exec_lo, s39
	global_load_b32 v109, v[0:1], off offset:64
	s_and_saveexec_b32 s39, vcc_hi
	s_cbranch_execz .LBB18_40
; %bb.39:                               ;   in Loop: Header=BB18_6 Depth=2
	v_add_co_u32 v110, s24, v76, v36
	s_delay_alu instid0(VALU_DEP_1)
	v_add_co_ci_u32_e64 v111, s24, v77, v37, s24
	global_load_b32 v107, v[110:111], off
.LBB18_40:                              ;   in Loop: Header=BB18_6 Depth=2
	s_or_b32 exec_lo, exec_lo, s39
	global_load_b32 v110, v[0:1], off offset:68
	v_dual_mov_b32 v111, 0 :: v_dual_mov_b32 v112, 0
	s_and_saveexec_b32 s39, s38
	s_cbranch_execz .LBB18_42
; %bb.41:                               ;   in Loop: Header=BB18_6 Depth=2
	v_add_co_u32 v112, s24, v76, v38
	s_delay_alu instid0(VALU_DEP_1)
	v_add_co_ci_u32_e64 v113, s24, v77, v39, s24
	global_load_b32 v112, v[112:113], off
.LBB18_42:                              ;   in Loop: Header=BB18_6 Depth=2
	s_or_b32 exec_lo, exec_lo, s39
	global_load_b32 v113, v[0:1], off offset:72
	s_and_saveexec_b32 s39, s77
	s_cbranch_execz .LBB18_44
; %bb.43:                               ;   in Loop: Header=BB18_6 Depth=2
	v_add_co_u32 v114, s24, v76, v40
	s_delay_alu instid0(VALU_DEP_1)
	v_add_co_ci_u32_e64 v115, s24, v77, v41, s24
	global_load_b32 v111, v[114:115], off
.LBB18_44:                              ;   in Loop: Header=BB18_6 Depth=2
	s_or_b32 exec_lo, exec_lo, s39
	global_load_b32 v114, v[0:1], off offset:76
	v_dual_mov_b32 v115, 0 :: v_dual_mov_b32 v116, 0
	s_and_saveexec_b32 s39, s91
	s_cbranch_execz .LBB18_46
; %bb.45:                               ;   in Loop: Header=BB18_6 Depth=2
	v_add_co_u32 v116, s24, v76, v42
	s_delay_alu instid0(VALU_DEP_1)
	v_add_co_ci_u32_e64 v117, s24, v77, v43, s24
	global_load_b32 v116, v[116:117], off
.LBB18_46:                              ;   in Loop: Header=BB18_6 Depth=2
	s_or_b32 exec_lo, exec_lo, s39
	global_load_b32 v117, v[0:1], off offset:80
	s_and_saveexec_b32 s39, s64
	;; [unrolled: 21-line block ×5, first 2 shown]
	s_cbranch_execz .LBB18_5
; %bb.59:                               ;   in Loop: Header=BB18_6 Depth=2
	v_add_co_u32 v76, s24, v76, v56
	s_delay_alu instid0(VALU_DEP_1)
	v_add_co_ci_u32_e64 v77, s24, v77, v57, s24
	global_load_b32 v127, v[76:77], off
	s_branch .LBB18_5
.LBB18_60:
	s_nop 0
	s_sendmsg sendmsg(MSG_DEALLOC_VGPRS)
	s_endpgm
	.section	.rodata,"a",@progbits
	.p2align	6, 0x0
	.amdhsa_kernel _ZN2at6native12_GLOBAL__N_143conv_depthwise3d_cuda_backward_input_kernelIffLi3ELi3ELi3ELi1ELi1ELi1ELin1ELin1ELin1EEEvN5torch10headeronly6detail27GenericPackedTensorAccessorINS5_14TensorAccessorIN3c108ArrayRefIlEEKT_Lm4ENS4_16DefaultPtrTraitsEiEENS_6detail16IndexBoundsCheckILm5EiEESC_Lm5ESD_iEENS6_INS7_ISA_SB_Lm4ESD_iEESH_SB_Lm5ESD_iEESI_iiiiiiiii
		.amdhsa_group_segment_fixed_size 0
		.amdhsa_private_segment_fixed_size 0
		.amdhsa_kernarg_size 440
		.amdhsa_user_sgpr_count 15
		.amdhsa_user_sgpr_dispatch_ptr 0
		.amdhsa_user_sgpr_queue_ptr 0
		.amdhsa_user_sgpr_kernarg_segment_ptr 1
		.amdhsa_user_sgpr_dispatch_id 0
		.amdhsa_user_sgpr_private_segment_size 0
		.amdhsa_wavefront_size32 1
		.amdhsa_uses_dynamic_stack 0
		.amdhsa_enable_private_segment 0
		.amdhsa_system_sgpr_workgroup_id_x 1
		.amdhsa_system_sgpr_workgroup_id_y 0
		.amdhsa_system_sgpr_workgroup_id_z 0
		.amdhsa_system_sgpr_workgroup_info 0
		.amdhsa_system_vgpr_workitem_id 0
		.amdhsa_next_free_vgpr 131
		.amdhsa_next_free_sgpr 105
		.amdhsa_reserve_vcc 1
		.amdhsa_float_round_mode_32 0
		.amdhsa_float_round_mode_16_64 0
		.amdhsa_float_denorm_mode_32 3
		.amdhsa_float_denorm_mode_16_64 3
		.amdhsa_dx10_clamp 1
		.amdhsa_ieee_mode 1
		.amdhsa_fp16_overflow 0
		.amdhsa_workgroup_processor_mode 1
		.amdhsa_memory_ordered 1
		.amdhsa_forward_progress 0
		.amdhsa_shared_vgpr_count 0
		.amdhsa_exception_fp_ieee_invalid_op 0
		.amdhsa_exception_fp_denorm_src 0
		.amdhsa_exception_fp_ieee_div_zero 0
		.amdhsa_exception_fp_ieee_overflow 0
		.amdhsa_exception_fp_ieee_underflow 0
		.amdhsa_exception_fp_ieee_inexact 0
		.amdhsa_exception_int_div_zero 0
	.end_amdhsa_kernel
	.section	.text._ZN2at6native12_GLOBAL__N_143conv_depthwise3d_cuda_backward_input_kernelIffLi3ELi3ELi3ELi1ELi1ELi1ELin1ELin1ELin1EEEvN5torch10headeronly6detail27GenericPackedTensorAccessorINS5_14TensorAccessorIN3c108ArrayRefIlEEKT_Lm4ENS4_16DefaultPtrTraitsEiEENS_6detail16IndexBoundsCheckILm5EiEESC_Lm5ESD_iEENS6_INS7_ISA_SB_Lm4ESD_iEESH_SB_Lm5ESD_iEESI_iiiiiiiii,"axG",@progbits,_ZN2at6native12_GLOBAL__N_143conv_depthwise3d_cuda_backward_input_kernelIffLi3ELi3ELi3ELi1ELi1ELi1ELin1ELin1ELin1EEEvN5torch10headeronly6detail27GenericPackedTensorAccessorINS5_14TensorAccessorIN3c108ArrayRefIlEEKT_Lm4ENS4_16DefaultPtrTraitsEiEENS_6detail16IndexBoundsCheckILm5EiEESC_Lm5ESD_iEENS6_INS7_ISA_SB_Lm4ESD_iEESH_SB_Lm5ESD_iEESI_iiiiiiiii,comdat
.Lfunc_end18:
	.size	_ZN2at6native12_GLOBAL__N_143conv_depthwise3d_cuda_backward_input_kernelIffLi3ELi3ELi3ELi1ELi1ELi1ELin1ELin1ELin1EEEvN5torch10headeronly6detail27GenericPackedTensorAccessorINS5_14TensorAccessorIN3c108ArrayRefIlEEKT_Lm4ENS4_16DefaultPtrTraitsEiEENS_6detail16IndexBoundsCheckILm5EiEESC_Lm5ESD_iEENS6_INS7_ISA_SB_Lm4ESD_iEESH_SB_Lm5ESD_iEESI_iiiiiiiii, .Lfunc_end18-_ZN2at6native12_GLOBAL__N_143conv_depthwise3d_cuda_backward_input_kernelIffLi3ELi3ELi3ELi1ELi1ELi1ELin1ELin1ELin1EEEvN5torch10headeronly6detail27GenericPackedTensorAccessorINS5_14TensorAccessorIN3c108ArrayRefIlEEKT_Lm4ENS4_16DefaultPtrTraitsEiEENS_6detail16IndexBoundsCheckILm5EiEESC_Lm5ESD_iEENS6_INS7_ISA_SB_Lm4ESD_iEESH_SB_Lm5ESD_iEESI_iiiiiiiii
                                        ; -- End function
	.section	.AMDGPU.csdata,"",@progbits
; Kernel info:
; codeLenInByte = 6508
; NumSgprs: 107
; NumVgprs: 131
; ScratchSize: 0
; MemoryBound: 0
; FloatMode: 240
; IeeeMode: 1
; LDSByteSize: 0 bytes/workgroup (compile time only)
; SGPRBlocks: 13
; VGPRBlocks: 16
; NumSGPRsForWavesPerEU: 107
; NumVGPRsForWavesPerEU: 131
; Occupancy: 10
; WaveLimiterHint : 0
; COMPUTE_PGM_RSRC2:SCRATCH_EN: 0
; COMPUTE_PGM_RSRC2:USER_SGPR: 15
; COMPUTE_PGM_RSRC2:TRAP_HANDLER: 0
; COMPUTE_PGM_RSRC2:TGID_X_EN: 1
; COMPUTE_PGM_RSRC2:TGID_Y_EN: 0
; COMPUTE_PGM_RSRC2:TGID_Z_EN: 0
; COMPUTE_PGM_RSRC2:TIDIG_COMP_CNT: 0
	.section	.text._ZN2at6native12_GLOBAL__N_143conv_depthwise3d_cuda_backward_input_kernelIffLi3ELi3ELi3ELin1ELin1ELin1ELi1ELi1ELi1EEEvN5torch10headeronly6detail27GenericPackedTensorAccessorINS5_14TensorAccessorIN3c108ArrayRefIlEEKT_Lm4ENS4_16DefaultPtrTraitsEiEENS_6detail16IndexBoundsCheckILm5EiEESC_Lm5ESD_iEENS6_INS7_ISA_SB_Lm4ESD_iEESH_SB_Lm5ESD_iEESI_iiiiiiiii,"axG",@progbits,_ZN2at6native12_GLOBAL__N_143conv_depthwise3d_cuda_backward_input_kernelIffLi3ELi3ELi3ELin1ELin1ELin1ELi1ELi1ELi1EEEvN5torch10headeronly6detail27GenericPackedTensorAccessorINS5_14TensorAccessorIN3c108ArrayRefIlEEKT_Lm4ENS4_16DefaultPtrTraitsEiEENS_6detail16IndexBoundsCheckILm5EiEESC_Lm5ESD_iEENS6_INS7_ISA_SB_Lm4ESD_iEESH_SB_Lm5ESD_iEESI_iiiiiiiii,comdat
	.globl	_ZN2at6native12_GLOBAL__N_143conv_depthwise3d_cuda_backward_input_kernelIffLi3ELi3ELi3ELin1ELin1ELin1ELi1ELi1ELi1EEEvN5torch10headeronly6detail27GenericPackedTensorAccessorINS5_14TensorAccessorIN3c108ArrayRefIlEEKT_Lm4ENS4_16DefaultPtrTraitsEiEENS_6detail16IndexBoundsCheckILm5EiEESC_Lm5ESD_iEENS6_INS7_ISA_SB_Lm4ESD_iEESH_SB_Lm5ESD_iEESI_iiiiiiiii ; -- Begin function _ZN2at6native12_GLOBAL__N_143conv_depthwise3d_cuda_backward_input_kernelIffLi3ELi3ELi3ELin1ELin1ELin1ELi1ELi1ELi1EEEvN5torch10headeronly6detail27GenericPackedTensorAccessorINS5_14TensorAccessorIN3c108ArrayRefIlEEKT_Lm4ENS4_16DefaultPtrTraitsEiEENS_6detail16IndexBoundsCheckILm5EiEESC_Lm5ESD_iEENS6_INS7_ISA_SB_Lm4ESD_iEESH_SB_Lm5ESD_iEESI_iiiiiiiii
	.p2align	8
	.type	_ZN2at6native12_GLOBAL__N_143conv_depthwise3d_cuda_backward_input_kernelIffLi3ELi3ELi3ELin1ELin1ELin1ELi1ELi1ELi1EEEvN5torch10headeronly6detail27GenericPackedTensorAccessorINS5_14TensorAccessorIN3c108ArrayRefIlEEKT_Lm4ENS4_16DefaultPtrTraitsEiEENS_6detail16IndexBoundsCheckILm5EiEESC_Lm5ESD_iEENS6_INS7_ISA_SB_Lm4ESD_iEESH_SB_Lm5ESD_iEESI_iiiiiiiii,@function
_ZN2at6native12_GLOBAL__N_143conv_depthwise3d_cuda_backward_input_kernelIffLi3ELi3ELi3ELin1ELin1ELin1ELi1ELi1ELi1EEEvN5torch10headeronly6detail27GenericPackedTensorAccessorINS5_14TensorAccessorIN3c108ArrayRefIlEEKT_Lm4ENS4_16DefaultPtrTraitsEiEENS_6detail16IndexBoundsCheckILm5EiEESC_Lm5ESD_iEENS6_INS7_ISA_SB_Lm4ESD_iEESH_SB_Lm5ESD_iEESI_iiiiiiiii: ; @_ZN2at6native12_GLOBAL__N_143conv_depthwise3d_cuda_backward_input_kernelIffLi3ELi3ELi3ELin1ELin1ELin1ELi1ELi1ELi1EEEvN5torch10headeronly6detail27GenericPackedTensorAccessorINS5_14TensorAccessorIN3c108ArrayRefIlEEKT_Lm4ENS4_16DefaultPtrTraitsEiEENS_6detail16IndexBoundsCheckILm5EiEESC_Lm5ESD_iEENS6_INS7_ISA_SB_Lm4ESD_iEESH_SB_Lm5ESD_iEESI_iiiiiiiii
; %bb.0:
	s_clause 0x2
	s_load_b128 s[8:11], s[0:1], 0x38
	s_load_b32 s4, s[0:1], 0xc4
	s_load_b64 s[24:25], s[0:1], 0x48
	s_mov_b32 s6, exec_lo
	s_waitcnt lgkmcnt(0)
	s_abs_i32 s7, s9
	s_add_u32 s2, s0, 0xb8
	v_cvt_f32_u32_e32 v1, s7
	s_addc_u32 s3, s1, 0
	s_and_b32 s4, s4, 0xffff
	s_mul_i32 s26, s25, s8
	s_delay_alu instid0(SALU_CYCLE_1) | instskip(SKIP_3) | instid1(VALU_DEP_1)
	s_ashr_i32 s27, s26, 31
	v_rcp_iflag_f32_e32 v2, v1
	s_waitcnt_depctr 0xfff
	v_dual_mov_b32 v1, 0 :: v_dual_mul_f32 v4, 0x4f7ffffe, v2
	v_mad_u64_u32 v[2:3], null, s4, s15, v[0:1]
	s_delay_alu instid0(VALU_DEP_2) | instskip(NEXT) | instid1(VALU_DEP_1)
	v_cvt_u32_f32_e32 v0, v4
	v_readfirstlane_b32 s5, v0
	s_delay_alu instid0(VALU_DEP_3)
	v_cmpx_gt_i64_e64 s[26:27], v[2:3]
	s_cbranch_execz .LBB19_60
; %bb.1:
	s_clause 0x1
	s_load_b128 s[12:15], s[0:1], 0xc
	s_load_b64 s[28:29], s[0:1], 0x0
	s_sub_i32 s6, 0, s7
	s_mov_b32 s41, 0
	s_mul_i32 s8, s6, s5
	v_mul_lo_u32 v6, s6, v0
	s_mul_hi_u32 s8, s5, s8
	s_delay_alu instid0(SALU_CYCLE_1) | instskip(SKIP_1) | instid1(VALU_DEP_1)
	s_add_i32 s5, s5, s8
	s_ashr_i32 s8, s9, 31
	v_mul_hi_u32 v6, v0, v6
	s_waitcnt lgkmcnt(0)
	s_abs_i32 s16, s12
	s_ashr_i32 s12, s12, 31
	s_mul_hi_u32 s5, s16, s5
	s_xor_b32 s48, s12, s8
	s_mul_i32 s17, s5, s7
	s_delay_alu instid0(VALU_DEP_1)
	v_add_nc_u32_e32 v63, v0, v6
	s_sub_i32 s12, s16, s17
	s_add_i32 s16, s5, 1
	s_sub_i32 s17, s12, s7
	s_cmp_ge_u32 s12, s7
	s_cselect_b32 s5, s16, s5
	s_cselect_b32 s12, s17, s12
	s_add_i32 s16, s5, 1
	s_cmp_ge_u32 s12, s7
	s_cselect_b32 s5, s16, s5
	s_abs_i32 s12, s24
	s_abs_i32 s33, s11
	v_cvt_f32_u32_e32 v1, s12
	v_cvt_f32_u32_e32 v4, s33
	s_abs_i32 s40, s10
	s_load_b64 s[30:31], s[0:1], 0xac
	s_load_b32 s2, s[2:3], 0x0
	s_clause 0x3
	s_load_b128 s[16:19], s[0:1], 0x9c
	s_load_b32 s42, s[0:1], 0x7c
	s_load_b64 s[34:35], s[0:1], 0x1c
	s_load_b64 s[36:37], s[0:1], 0x30
	v_cvt_f32_u32_e32 v5, s40
	v_rcp_iflag_f32_e32 v1, v1
	v_rcp_iflag_f32_e32 v4, v4
	s_sub_i32 s3, 0, s12
	s_sub_i32 s6, 0, s33
	v_rcp_iflag_f32_e32 v5, v5
	s_sub_i32 s20, 0, s40
	s_ashr_i32 s47, s24, 31
	s_ashr_i32 s49, s11, 31
	s_ashr_i32 s50, s10, 31
	s_waitcnt_depctr 0xfff
	v_dual_mul_f32 v1, 0x4f7ffffe, v1 :: v_dual_mul_f32 v4, 0x4f7ffffe, v4
	s_waitcnt lgkmcnt(0)
	s_lshl_b32 s44, s31, 1
	s_mul_i32 s43, s2, s4
	s_delay_alu instid0(VALU_DEP_1) | instskip(SKIP_3) | instid1(VALU_DEP_2)
	v_cvt_u32_f32_e32 v1, v1
	v_cvt_u32_f32_e32 v4, v4
	s_lshl_b32 s45, s30, 1
	s_lshl_b32 s46, s19, 1
	v_mul_lo_u32 v7, s3, v1
	s_delay_alu instid0(VALU_DEP_2) | instskip(NEXT) | instid1(VALU_DEP_2)
	v_mul_lo_u32 v8, s6, v4
	v_mul_hi_u32 v7, v1, v7
	v_mul_f32_e32 v5, 0x4f7ffffe, v5
	s_delay_alu instid0(VALU_DEP_3) | instskip(NEXT) | instid1(VALU_DEP_3)
	v_mul_hi_u32 v8, v4, v8
	v_add_nc_u32_e32 v60, v1, v7
	s_delay_alu instid0(VALU_DEP_3) | instskip(NEXT) | instid1(VALU_DEP_3)
	v_cvt_u32_f32_e32 v5, v5
	v_add_nc_u32_e32 v61, v4, v8
	s_delay_alu instid0(VALU_DEP_2) | instskip(SKIP_4) | instid1(SALU_CYCLE_1)
	v_mul_lo_u32 v9, s20, v5
	s_clause 0x1
	s_load_b64 s[38:39], s[0:1], 0x60
	s_load_b128 s[20:23], s[0:1], 0x50
	s_xor_b32 s0, s5, s48
	s_sub_i32 s48, s0, s48
	s_delay_alu instid0(SALU_CYCLE_1) | instskip(NEXT) | instid1(VALU_DEP_1)
	s_mul_i32 s51, s35, s48
	v_mul_hi_u32 v9, v5, v9
	s_delay_alu instid0(VALU_DEP_1)
	v_add_nc_u32_e32 v62, v5, v9
	s_branch .LBB19_3
.LBB19_2:                               ;   in Loop: Header=BB19_3 Depth=1
	s_or_b32 exec_lo, exec_lo, s52
	v_mul_lo_u32 v0, v68, s25
	s_waitcnt lgkmcnt(0)
	v_mul_lo_u32 v4, s20, v66
	v_mul_lo_u32 v6, s21, v67
	v_mul_lo_u32 v8, s22, v65
	v_add_co_u32 v2, vcc_lo, v2, s43
	v_add_co_ci_u32_e32 v3, vcc_lo, 0, v3, vcc_lo
	v_ashrrev_i32_e32 v1, 31, v0
	v_ashrrev_i32_e32 v5, 31, v4
	;; [unrolled: 1-line block ×3, first 2 shown]
	v_mul_lo_u32 v10, s23, v64
	v_ashrrev_i32_e32 v9, 31, v8
	v_lshlrev_b64 v[0:1], 2, v[0:1]
	v_lshlrev_b64 v[4:5], 2, v[4:5]
	s_delay_alu instid0(VALU_DEP_4) | instskip(NEXT) | instid1(VALU_DEP_3)
	v_ashrrev_i32_e32 v11, 31, v10
	v_add_co_u32 v12, vcc_lo, s36, v0
	s_delay_alu instid0(VALU_DEP_4) | instskip(SKIP_1) | instid1(VALU_DEP_3)
	v_add_co_ci_u32_e32 v13, vcc_lo, s37, v1, vcc_lo
	v_lshlrev_b64 v[0:1], 2, v[6:7]
	v_add_co_u32 v6, vcc_lo, v12, v4
	s_delay_alu instid0(VALU_DEP_3) | instskip(SKIP_1) | instid1(VALU_DEP_3)
	v_add_co_ci_u32_e32 v7, vcc_lo, v13, v5, vcc_lo
	v_lshlrev_b64 v[4:5], 2, v[8:9]
	v_add_co_u32 v6, vcc_lo, v6, v0
	s_delay_alu instid0(VALU_DEP_3) | instskip(SKIP_1) | instid1(VALU_DEP_3)
	v_add_co_ci_u32_e32 v7, vcc_lo, v7, v1, vcc_lo
	v_lshlrev_b64 v[0:1], 2, v[10:11]
	v_add_co_u32 v4, vcc_lo, v6, v4
	s_delay_alu instid0(VALU_DEP_3) | instskip(SKIP_1) | instid1(VALU_DEP_3)
	v_add_co_ci_u32_e32 v5, vcc_lo, v7, v5, vcc_lo
	v_cmp_le_i64_e32 vcc_lo, s[26:27], v[2:3]
	v_add_co_u32 v0, s0, v4, v0
	s_delay_alu instid0(VALU_DEP_1)
	v_add_co_ci_u32_e64 v1, s0, v5, v1, s0
	s_or_b32 s41, vcc_lo, s41
	global_store_b32 v[0:1], v71, off
	s_and_not1_b32 exec_lo, exec_lo, s41
	s_cbranch_execz .LBB19_60
.LBB19_3:                               ; =>This Loop Header: Depth=1
                                        ;     Child Loop BB19_6 Depth 2
	v_sub_nc_u32_e32 v0, 0, v2
	s_mov_b32 s52, exec_lo
	v_mov_b32_e32 v71, 0
	s_delay_alu instid0(VALU_DEP_2) | instskip(NEXT) | instid1(VALU_DEP_1)
	v_max_i32_e32 v0, v2, v0
	v_mul_hi_u32 v1, v0, v60
	s_delay_alu instid0(VALU_DEP_1) | instskip(NEXT) | instid1(VALU_DEP_1)
	v_mul_lo_u32 v4, v1, s12
	v_sub_nc_u32_e32 v0, v0, v4
	v_add_nc_u32_e32 v4, 1, v1
	s_delay_alu instid0(VALU_DEP_2) | instskip(SKIP_1) | instid1(VALU_DEP_2)
	v_subrev_nc_u32_e32 v5, s12, v0
	v_cmp_le_u32_e32 vcc_lo, s12, v0
	v_dual_cndmask_b32 v1, v1, v4 :: v_dual_cndmask_b32 v0, v0, v5
	v_ashrrev_i32_e32 v4, 31, v2
	s_delay_alu instid0(VALU_DEP_2) | instskip(NEXT) | instid1(VALU_DEP_3)
	v_add_nc_u32_e32 v5, 1, v1
	v_cmp_le_u32_e32 vcc_lo, s12, v0
	s_delay_alu instid0(VALU_DEP_3) | instskip(NEXT) | instid1(VALU_DEP_3)
	v_xor_b32_e32 v4, s47, v4
	v_cndmask_b32_e32 v0, v1, v5, vcc_lo
	s_delay_alu instid0(VALU_DEP_1) | instskip(NEXT) | instid1(VALU_DEP_1)
	v_xor_b32_e32 v0, v0, v4
	v_sub_nc_u32_e32 v1, v0, v4
	s_delay_alu instid0(VALU_DEP_1) | instskip(NEXT) | instid1(VALU_DEP_1)
	v_sub_nc_u32_e32 v0, 0, v1
	v_max_i32_e32 v0, v1, v0
	s_delay_alu instid0(VALU_DEP_1) | instskip(NEXT) | instid1(VALU_DEP_1)
	v_mul_hi_u32 v4, v0, v61
	v_mul_lo_u32 v5, v4, s33
	s_delay_alu instid0(VALU_DEP_1) | instskip(SKIP_1) | instid1(VALU_DEP_2)
	v_sub_nc_u32_e32 v0, v0, v5
	v_add_nc_u32_e32 v5, 1, v4
	v_subrev_nc_u32_e32 v6, s33, v0
	v_cmp_le_u32_e32 vcc_lo, s33, v0
	s_delay_alu instid0(VALU_DEP_3) | instskip(NEXT) | instid1(VALU_DEP_3)
	v_cndmask_b32_e32 v4, v4, v5, vcc_lo
	v_cndmask_b32_e32 v0, v0, v6, vcc_lo
	v_ashrrev_i32_e32 v5, 31, v1
	s_delay_alu instid0(VALU_DEP_3) | instskip(NEXT) | instid1(VALU_DEP_3)
	v_add_nc_u32_e32 v6, 1, v4
	v_cmp_le_u32_e32 vcc_lo, s33, v0
	s_delay_alu instid0(VALU_DEP_3) | instskip(NEXT) | instid1(VALU_DEP_3)
	v_xor_b32_e32 v5, s49, v5
	v_cndmask_b32_e32 v0, v4, v6, vcc_lo
	s_delay_alu instid0(VALU_DEP_1) | instskip(NEXT) | instid1(VALU_DEP_1)
	v_xor_b32_e32 v0, v0, v5
	v_sub_nc_u32_e32 v4, v0, v5
	s_delay_alu instid0(VALU_DEP_1) | instskip(NEXT) | instid1(VALU_DEP_1)
	v_sub_nc_u32_e32 v0, 0, v4
	v_max_i32_e32 v0, v4, v0
	s_delay_alu instid0(VALU_DEP_1) | instskip(NEXT) | instid1(VALU_DEP_1)
	v_mul_hi_u32 v5, v0, v62
	v_mul_lo_u32 v6, v5, s40
	s_delay_alu instid0(VALU_DEP_1) | instskip(SKIP_1) | instid1(VALU_DEP_2)
	v_sub_nc_u32_e32 v0, v0, v6
	v_add_nc_u32_e32 v6, 1, v5
	v_subrev_nc_u32_e32 v7, s40, v0
	v_cmp_le_u32_e32 vcc_lo, s40, v0
	s_delay_alu instid0(VALU_DEP_2) | instskip(SKIP_1) | instid1(VALU_DEP_2)
	v_dual_cndmask_b32 v5, v5, v6 :: v_dual_cndmask_b32 v0, v0, v7
	v_ashrrev_i32_e32 v6, 31, v4
	v_add_nc_u32_e32 v7, 1, v5
	s_delay_alu instid0(VALU_DEP_3) | instskip(NEXT) | instid1(VALU_DEP_3)
	v_cmp_le_u32_e32 vcc_lo, s40, v0
	v_xor_b32_e32 v6, s50, v6
	s_delay_alu instid0(VALU_DEP_3) | instskip(NEXT) | instid1(VALU_DEP_1)
	v_cndmask_b32_e32 v0, v5, v7, vcc_lo
	v_xor_b32_e32 v0, v0, v6
	s_delay_alu instid0(VALU_DEP_1) | instskip(NEXT) | instid1(VALU_DEP_1)
	v_sub_nc_u32_e32 v5, v0, v6
	v_sub_nc_u32_e32 v0, 0, v5
	s_delay_alu instid0(VALU_DEP_1) | instskip(NEXT) | instid1(VALU_DEP_1)
	v_max_i32_e32 v0, v5, v0
	v_mul_hi_u32 v6, v0, v63
	s_delay_alu instid0(VALU_DEP_1) | instskip(NEXT) | instid1(VALU_DEP_1)
	v_mul_lo_u32 v7, v6, s7
	v_sub_nc_u32_e32 v0, v0, v7
	v_add_nc_u32_e32 v7, 1, v6
	s_delay_alu instid0(VALU_DEP_2) | instskip(SKIP_1) | instid1(VALU_DEP_3)
	v_subrev_nc_u32_e32 v8, s7, v0
	v_cmp_le_u32_e32 vcc_lo, s7, v0
	v_cndmask_b32_e32 v6, v6, v7, vcc_lo
	s_delay_alu instid0(VALU_DEP_3) | instskip(SKIP_1) | instid1(VALU_DEP_3)
	v_cndmask_b32_e32 v0, v0, v8, vcc_lo
	v_ashrrev_i32_e32 v7, 31, v5
	v_add_nc_u32_e32 v8, 1, v6
	s_delay_alu instid0(VALU_DEP_3) | instskip(NEXT) | instid1(VALU_DEP_3)
	v_cmp_le_u32_e32 vcc_lo, s7, v0
	v_xor_b32_e32 v7, s8, v7
	s_delay_alu instid0(VALU_DEP_3) | instskip(SKIP_1) | instid1(VALU_DEP_2)
	v_cndmask_b32_e32 v0, v6, v8, vcc_lo
	v_mul_lo_u32 v6, v1, s24
	v_xor_b32_e32 v0, v0, v7
	s_delay_alu instid0(VALU_DEP_2) | instskip(NEXT) | instid1(VALU_DEP_2)
	v_sub_nc_u32_e32 v64, v2, v6
	v_sub_nc_u32_e32 v68, v0, v7
	v_mul_lo_u32 v7, v4, s11
	s_delay_alu instid0(VALU_DEP_2) | instskip(NEXT) | instid1(VALU_DEP_2)
	v_mul_lo_u32 v0, v68, s9
	v_sub_nc_u32_e32 v65, v1, v7
	s_delay_alu instid0(VALU_DEP_2) | instskip(SKIP_1) | instid1(VALU_DEP_2)
	v_sub_nc_u32_e32 v66, v5, v0
	v_mul_lo_u32 v5, v5, s10
	v_mul_lo_u32 v0, v66, s48
	s_delay_alu instid0(VALU_DEP_2) | instskip(NEXT) | instid1(VALU_DEP_2)
	v_sub_nc_u32_e32 v67, v4, v5
	v_add_nc_u32_e32 v8, s48, v0
	s_delay_alu instid0(VALU_DEP_1)
	v_cmpx_lt_i32_e64 v0, v8
	s_cbranch_execz .LBB19_2
; %bb.4:                                ;   in Loop: Header=BB19_3 Depth=1
	v_mul_lo_u32 v0, s42, v0
	v_add_nc_u32_e32 v21, s16, v67
	v_mul_lo_u32 v5, s34, v68
	v_add_nc_u32_e32 v40, s17, v65
	v_add_nc_u32_e32 v4, s18, v64
	s_delay_alu instid0(VALU_DEP_4) | instskip(SKIP_2) | instid1(VALU_DEP_4)
	v_mul_lo_u32 v17, v21, s14
	v_cmp_gt_i32_e64 s5, s13, v21
	v_ashrrev_i32_e32 v1, 31, v0
	v_or_b32_e32 v9, v4, v40
	v_ashrrev_i32_e32 v6, 31, v5
	v_cmp_gt_i32_e64 s4, s14, v40
	v_subrev_nc_u32_e32 v58, s44, v4
	v_lshlrev_b64 v[0:1], 2, v[0:1]
	v_add_nc_u32_e32 v7, v40, v17
	v_lshlrev_b64 v[5:6], 2, v[5:6]
	v_subrev_nc_u32_e32 v44, s30, v40
	v_subrev_nc_u32_e32 v8, s45, v40
	;; [unrolled: 1-line block ×3, first 2 shown]
	s_waitcnt lgkmcnt(0)
	v_add_co_u32 v0, vcc_lo, s38, v0
	v_mul_lo_u32 v11, v7, s15
	v_subrev_nc_u32_e32 v7, s31, v4
	v_add_co_ci_u32_e32 v1, vcc_lo, s39, v1, vcc_lo
	v_add_co_u32 v69, vcc_lo, s28, v5
	v_or_b32_e32 v5, v9, v21
	s_delay_alu instid0(VALU_DEP_4) | instskip(SKIP_2) | instid1(VALU_DEP_4)
	v_or_b32_e32 v10, v7, v40
	v_add_co_ci_u32_e32 v70, vcc_lo, s29, v6, vcc_lo
	v_cmp_gt_i32_e32 vcc_lo, s15, v4
	v_cmp_lt_i32_e64 s0, -1, v5
	s_delay_alu instid0(VALU_DEP_4)
	v_or_b32_e32 v12, v10, v21
	v_or_b32_e32 v14, v4, v44
	;; [unrolled: 1-line block ×4, first 2 shown]
	s_and_b32 s0, vcc_lo, s0
	v_cmp_lt_i32_e64 s1, -1, v12
	s_and_b32 s0, s0, s4
	v_or_b32_e32 v12, v58, v40
	s_and_b32 s53, s0, s5
	v_cmp_gt_i32_e64 s0, s15, v7
	v_or_b32_e32 v15, v16, v21
	v_or_b32_e32 v29, v18, v21
	;; [unrolled: 1-line block ×4, first 2 shown]
	s_and_b32 s1, s0, s1
	v_or_b32_e32 v22, v7, v8
	s_and_b32 s1, s1, s4
	v_cmp_lt_i32_e64 s2, -1, v13
	s_and_b32 s54, s1, s5
	v_cmp_gt_i32_e64 s1, s15, v58
	v_or_b32_e32 v13, v14, v21
	v_or_b32_e32 v25, v58, v8
	;; [unrolled: 1-line block ×4, first 2 shown]
	s_and_b32 s2, s1, s2
	v_cmp_lt_i32_e64 s3, -1, v13
	s_and_b32 s2, s2, s4
	s_and_b32 s71, vcc_lo, s4
	s_and_b32 s55, s2, s5
	v_cmp_gt_i32_e64 s2, s14, v44
	s_and_b32 s3, vcc_lo, s3
	v_or_b32_e32 v27, v12, v24
	v_or_b32_e32 v28, v14, v24
	s_and_b32 s72, s0, s4
	s_and_b32 s6, s3, s2
	v_cmp_lt_i32_e64 s3, -1, v15
	s_and_b32 s56, s6, s5
	v_or_b32_e32 v30, v16, v24
	s_and_b32 s73, s1, s4
	v_cmp_lt_i32_e64 s4, -1, v28
	s_and_b32 s3, s0, s3
	v_or_b32_e32 v32, v18, v24
	s_and_b32 s3, s3, s2
	v_or_b32_e32 v34, v20, v24
	s_and_b32 s57, s3, s5
	v_cmp_lt_i32_e64 s3, -1, v29
	v_or_b32_e32 v29, v20, v21
	v_or_b32_e32 v36, v22, v24
	;; [unrolled: 1-line block ×3, first 2 shown]
	v_subrev_nc_u32_e32 v42, s46, v21
	s_and_b32 s3, s1, s3
	v_cmp_lt_i32_e64 s6, -1, v29
	s_and_b32 s3, s3, s2
	v_or_b32_e32 v29, v22, v21
	s_and_b32 s58, s3, s5
	v_cmp_gt_i32_e64 s3, s14, v8
	s_and_b32 s6, vcc_lo, s6
	v_or_b32_e32 v43, v9, v42
	v_or_b32_e32 v45, v10, v42
	;; [unrolled: 1-line block ×3, first 2 shown]
	s_and_b32 s59, s6, s3
	v_cmp_lt_i32_e64 s6, -1, v29
	v_or_b32_e32 v29, v25, v21
	s_and_b32 s59, s59, s5
	v_or_b32_e32 v47, v14, v42
	v_add_nc_u32_e32 v12, v44, v17
	s_and_b32 s6, s0, s6
	v_or_b32_e32 v50, v18, v42
	s_and_b32 s6, s6, s3
	v_add_nc_u32_e32 v18, v8, v17
	s_and_b32 s60, s6, s5
	v_cmp_lt_i32_e64 s6, -1, v29
	v_or_b32_e32 v48, v16, v42
	v_mul_lo_u32 v19, v12, s15
	v_mul_lo_u32 v31, v18, s15
	;; [unrolled: 1-line block ×3, first 2 shown]
	s_and_b32 s6, s1, s6
	v_mul_lo_u32 v51, v42, s14
	s_and_b32 s61, s6, s3
	v_cmp_lt_i32_e64 s6, -1, v23
	s_and_b32 s61, s61, s5
	v_cmp_gt_i32_e64 s5, s13, v24
	v_or_b32_e32 v52, v20, v42
	v_add_nc_u32_e32 v13, v4, v19
	s_and_b32 s62, s71, s6
	v_cmp_lt_i32_e64 s6, -1, v26
	s_and_b32 s62, s62, s5
	v_add_nc_u32_e32 v15, v7, v19
	v_add_nc_u32_e32 v17, v58, v19
	;; [unrolled: 1-line block ×3, first 2 shown]
	s_and_b32 s63, s72, s6
	v_cmp_lt_i32_e64 s6, -1, v27
	s_and_b32 s63, s63, s5
	v_add_nc_u32_e32 v21, v7, v31
	v_add_nc_u32_e32 v29, v40, v33
	;; [unrolled: 1-line block ×3, first 2 shown]
	s_and_b32 s6, s73, s6
	v_add_nc_u32_e32 v31, v44, v33
	s_and_b32 s64, s6, s5
	s_and_b32 s6, vcc_lo, s4
	v_cmp_lt_i32_e64 s4, -1, v30
	s_and_b32 s6, s6, s2
	v_add_nc_u32_e32 v37, v8, v33
	s_and_b32 s65, s6, s5
	v_add_nc_u32_e32 v49, v40, v51
	s_and_b32 s6, s0, s4
	v_cmp_lt_i32_e64 s4, -1, v32
	s_and_b32 s6, s6, s2
	v_add_nc_u32_e32 v8, v8, v51
	s_and_b32 s66, s6, s5
	v_mul_lo_u32 v29, v29, s15
	s_and_b32 s67, s1, s4
	v_cmp_lt_i32_e64 s4, -1, v34
	s_and_b32 s6, s67, s2
	v_mul_lo_u32 v35, v31, s15
	s_and_b32 s67, s6, s5
	v_mul_lo_u32 v41, v37, s15
	s_and_b32 s4, vcc_lo, s4
	v_mul_lo_u32 v49, v49, s15
	s_and_b32 s6, s4, s3
	v_cmp_lt_i32_e64 s4, -1, v36
	s_and_b32 s68, s6, s5
	v_mul_lo_u32 v8, v8, s15
	v_or_b32_e32 v57, v25, v42
	v_add_nc_u32_e32 v5, v4, v11
	s_and_b32 s6, s0, s4
	v_cmp_lt_i32_e64 s4, -1, v39
	s_and_b32 s6, s6, s3
	v_add_nc_u32_e32 v9, v7, v11
	s_and_b32 s69, s6, s5
	v_add_nc_u32_e32 v11, v58, v11
	s_and_b32 s4, s1, s4
	v_or_b32_e32 v56, v22, v42
	s_and_b32 s6, s4, s3
	v_cmp_lt_i32_e64 s4, -1, v43
	s_and_b32 s70, s6, s5
	v_cmp_gt_i32_e64 s5, s13, v42
	v_cmp_lt_i32_e64 s6, -1, v45
	v_add_nc_u32_e32 v25, v4, v29
	s_and_b32 s4, s71, s4
	v_add_nc_u32_e32 v27, v7, v29
	s_and_b32 s71, s4, s5
	v_cmp_lt_i32_e64 s4, -1, v46
	s_and_b32 s6, s72, s6
	v_add_nc_u32_e32 v46, v44, v51
	s_and_b32 s72, s6, s5
	v_add_nc_u32_e32 v29, v58, v29
	s_and_b32 s6, s73, s4
	v_cmp_lt_i32_e64 s4, -1, v47
	s_and_b32 s73, s6, s5
	v_cmp_lt_i32_e64 s6, -1, v48
	v_mul_lo_u32 v53, v46, s15
	v_add_nc_u32_e32 v31, v4, v35
	s_and_b32 s4, vcc_lo, s4
	v_add_nc_u32_e32 v33, v7, v35
	s_and_b32 s4, s4, s2
	s_and_b32 s74, s0, s6
	;; [unrolled: 1-line block ×3, first 2 shown]
	v_cmp_lt_i32_e64 s4, -1, v50
	s_and_b32 s74, s74, s2
	v_add_nc_u32_e32 v35, v58, v35
	v_add_nc_u32_e32 v37, v4, v41
	;; [unrolled: 1-line block ×3, first 2 shown]
	s_and_b32 s75, s1, s4
	v_cmp_lt_i32_e64 s4, -1, v52
	s_and_b32 s2, s75, s2
	v_add_nc_u32_e32 v41, v58, v41
	s_and_b32 s75, s2, s5
	v_add_nc_u32_e32 v43, v4, v49
	s_and_b32 s2, vcc_lo, s4
	v_add_nc_u32_e32 v45, v7, v49
	s_and_b32 s2, s2, s3
	v_add_nc_u32_e32 v47, v58, v49
	v_add_nc_u32_e32 v49, v4, v53
	;; [unrolled: 1-line block ×5, first 2 shown]
	s_and_b32 s4, s2, s5
	v_cmp_lt_i32_e64 s2, -1, v57
	v_add_nc_u32_e32 v57, v7, v8
	v_add_nc_u32_e32 v71, v58, v8
	v_ashrrev_i32_e32 v6, 31, v5
	v_ashrrev_i32_e32 v10, 31, v9
	v_ashrrev_i32_e32 v12, 31, v11
	v_ashrrev_i32_e32 v14, 31, v13
	v_ashrrev_i32_e32 v16, 31, v15
	v_ashrrev_i32_e32 v18, 31, v17
	v_ashrrev_i32_e32 v20, 31, v19
	v_ashrrev_i32_e32 v22, 31, v21
	v_ashrrev_i32_e32 v24, 31, v23
	v_ashrrev_i32_e32 v26, 31, v25
	v_ashrrev_i32_e32 v28, 31, v27
	v_ashrrev_i32_e32 v30, 31, v29
	v_ashrrev_i32_e32 v32, 31, v31
	v_ashrrev_i32_e32 v34, 31, v33
	v_ashrrev_i32_e32 v36, 31, v35
	v_ashrrev_i32_e32 v38, 31, v37
	v_ashrrev_i32_e32 v40, 31, v39
	v_ashrrev_i32_e32 v42, 31, v41
	v_ashrrev_i32_e32 v44, 31, v43
	v_ashrrev_i32_e32 v46, 31, v45
	v_ashrrev_i32_e32 v48, 31, v47
	v_ashrrev_i32_e32 v50, 31, v49
	v_ashrrev_i32_e32 v52, 31, v51
	v_ashrrev_i32_e32 v54, 31, v53
	v_cmp_lt_i32_e32 vcc_lo, -1, v56
	v_ashrrev_i32_e32 v56, 31, v55
	v_ashrrev_i32_e32 v58, 31, v57
	;; [unrolled: 1-line block ×3, first 2 shown]
	v_mul_lo_u32 v4, s51, v66
	s_and_b32 s0, s0, vcc_lo
	s_and_b32 s1, s1, s2
	v_lshlrev_b64 v[6:7], 2, v[5:6]
	v_lshlrev_b64 v[8:9], 2, v[9:10]
	;; [unrolled: 1-line block ×27, first 2 shown]
	v_mov_b32_e32 v71, 0
	s_and_b32 s0, s0, s3
	s_and_b32 s1, s1, s3
	;; [unrolled: 1-line block ×5, first 2 shown]
	s_mov_b32 s2, s48
	s_branch .LBB19_6
.LBB19_5:                               ;   in Loop: Header=BB19_6 Depth=2
	s_or_b32 exec_lo, exec_lo, s3
	s_waitcnt vmcnt(26)
	v_dual_fmac_f32 v71, v72, v5 :: v_dual_add_nc_u32 v4, s35, v4
	v_add_co_u32 v0, vcc_lo, 0x6c, v0
	v_add_co_ci_u32_e32 v1, vcc_lo, 0, v1, vcc_lo
	s_waitcnt vmcnt(25)
	s_delay_alu instid0(VALU_DEP_3) | instskip(SKIP_1) | instid1(SALU_CYCLE_1)
	v_fmac_f32_e32 v71, v75, v77
	s_add_i32 s2, s2, -1
	s_cmp_eq_u32 s2, 0
	s_waitcnt vmcnt(24)
	s_delay_alu instid0(VALU_DEP_1) | instskip(SKIP_1) | instid1(VALU_DEP_1)
	v_fmac_f32_e32 v71, v78, v76
	s_waitcnt vmcnt(23)
	v_fmac_f32_e32 v71, v79, v81
	s_waitcnt vmcnt(22)
	s_delay_alu instid0(VALU_DEP_1) | instskip(SKIP_1) | instid1(VALU_DEP_1)
	v_fmac_f32_e32 v71, v82, v80
	s_waitcnt vmcnt(21)
	v_fmac_f32_e32 v71, v83, v85
	;; [unrolled: 5-line block ×12, first 2 shown]
	s_waitcnt vmcnt(0)
	s_delay_alu instid0(VALU_DEP_1)
	v_fmac_f32_e32 v71, v126, v123
	s_cbranch_scc1 .LBB19_2
.LBB19_6:                               ;   Parent Loop BB19_3 Depth=1
                                        ; =>  This Inner Loop Header: Depth=2
	global_load_b32 v72, v[0:1], off
	v_ashrrev_i32_e32 v5, 31, v4
	s_delay_alu instid0(VALU_DEP_1) | instskip(SKIP_1) | instid1(VALU_DEP_2)
	v_lshlrev_b64 v[73:74], 2, v[4:5]
	v_mov_b32_e32 v5, 0
	v_add_co_u32 v73, vcc_lo, v69, v73
	s_delay_alu instid0(VALU_DEP_3)
	v_add_co_ci_u32_e32 v74, vcc_lo, v70, v74, vcc_lo
	s_and_saveexec_b32 s3, s53
	s_cbranch_execz .LBB19_8
; %bb.7:                                ;   in Loop: Header=BB19_6 Depth=2
	s_delay_alu instid0(VALU_DEP_2) | instskip(NEXT) | instid1(VALU_DEP_2)
	v_add_co_u32 v75, vcc_lo, v73, v6
	v_add_co_ci_u32_e32 v76, vcc_lo, v74, v7, vcc_lo
	global_load_b32 v5, v[75:76], off
.LBB19_8:                               ;   in Loop: Header=BB19_6 Depth=2
	s_or_b32 exec_lo, exec_lo, s3
	global_load_b32 v75, v[0:1], off offset:4
	v_dual_mov_b32 v76, 0 :: v_dual_mov_b32 v77, 0
	s_and_saveexec_b32 s3, s54
	s_cbranch_execz .LBB19_10
; %bb.9:                                ;   in Loop: Header=BB19_6 Depth=2
	v_add_co_u32 v77, vcc_lo, v73, v8
	v_add_co_ci_u32_e32 v78, vcc_lo, v74, v9, vcc_lo
	global_load_b32 v77, v[77:78], off
.LBB19_10:                              ;   in Loop: Header=BB19_6 Depth=2
	s_or_b32 exec_lo, exec_lo, s3
	global_load_b32 v78, v[0:1], off offset:8
	s_and_saveexec_b32 s3, s55
	s_cbranch_execz .LBB19_12
; %bb.11:                               ;   in Loop: Header=BB19_6 Depth=2
	v_add_co_u32 v79, vcc_lo, v73, v10
	v_add_co_ci_u32_e32 v80, vcc_lo, v74, v11, vcc_lo
	global_load_b32 v76, v[79:80], off
.LBB19_12:                              ;   in Loop: Header=BB19_6 Depth=2
	s_or_b32 exec_lo, exec_lo, s3
	global_load_b32 v79, v[0:1], off offset:12
	v_dual_mov_b32 v80, 0 :: v_dual_mov_b32 v81, 0
	s_and_saveexec_b32 s3, s56
	s_cbranch_execz .LBB19_14
; %bb.13:                               ;   in Loop: Header=BB19_6 Depth=2
	v_add_co_u32 v81, vcc_lo, v73, v12
	v_add_co_ci_u32_e32 v82, vcc_lo, v74, v13, vcc_lo
	global_load_b32 v81, v[81:82], off
.LBB19_14:                              ;   in Loop: Header=BB19_6 Depth=2
	s_or_b32 exec_lo, exec_lo, s3
	global_load_b32 v82, v[0:1], off offset:16
	s_and_saveexec_b32 s3, s57
	s_cbranch_execz .LBB19_16
; %bb.15:                               ;   in Loop: Header=BB19_6 Depth=2
	v_add_co_u32 v83, vcc_lo, v73, v14
	v_add_co_ci_u32_e32 v84, vcc_lo, v74, v15, vcc_lo
	global_load_b32 v80, v[83:84], off
.LBB19_16:                              ;   in Loop: Header=BB19_6 Depth=2
	s_or_b32 exec_lo, exec_lo, s3
	global_load_b32 v83, v[0:1], off offset:20
	v_dual_mov_b32 v84, 0 :: v_dual_mov_b32 v85, 0
	s_and_saveexec_b32 s3, s58
	s_cbranch_execz .LBB19_18
; %bb.17:                               ;   in Loop: Header=BB19_6 Depth=2
	v_add_co_u32 v85, vcc_lo, v73, v16
	v_add_co_ci_u32_e32 v86, vcc_lo, v74, v17, vcc_lo
	global_load_b32 v85, v[85:86], off
.LBB19_18:                              ;   in Loop: Header=BB19_6 Depth=2
	;; [unrolled: 19-line block ×11, first 2 shown]
	s_or_b32 exec_lo, exec_lo, s3
	global_load_b32 v122, v[0:1], off offset:96
	s_and_saveexec_b32 s3, s4
	s_cbranch_execz .LBB19_56
; %bb.55:                               ;   in Loop: Header=BB19_6 Depth=2
	v_add_co_u32 v123, vcc_lo, v73, v54
	v_add_co_ci_u32_e32 v124, vcc_lo, v74, v55, vcc_lo
	global_load_b32 v120, v[123:124], off
.LBB19_56:                              ;   in Loop: Header=BB19_6 Depth=2
	s_or_b32 exec_lo, exec_lo, s3
	global_load_b32 v124, v[0:1], off offset:100
	v_mov_b32_e32 v123, 0
	v_mov_b32_e32 v125, 0
	s_and_saveexec_b32 s3, s0
	s_cbranch_execz .LBB19_58
; %bb.57:                               ;   in Loop: Header=BB19_6 Depth=2
	v_add_co_u32 v125, vcc_lo, v73, v56
	v_add_co_ci_u32_e32 v126, vcc_lo, v74, v57, vcc_lo
	global_load_b32 v125, v[125:126], off
.LBB19_58:                              ;   in Loop: Header=BB19_6 Depth=2
	s_or_b32 exec_lo, exec_lo, s3
	global_load_b32 v126, v[0:1], off offset:104
	s_and_saveexec_b32 s3, s1
	s_cbranch_execz .LBB19_5
; %bb.59:                               ;   in Loop: Header=BB19_6 Depth=2
	v_add_co_u32 v73, vcc_lo, v73, v58
	v_add_co_ci_u32_e32 v74, vcc_lo, v74, v59, vcc_lo
	global_load_b32 v123, v[73:74], off
	s_branch .LBB19_5
.LBB19_60:
	s_nop 0
	s_sendmsg sendmsg(MSG_DEALLOC_VGPRS)
	s_endpgm
	.section	.rodata,"a",@progbits
	.p2align	6, 0x0
	.amdhsa_kernel _ZN2at6native12_GLOBAL__N_143conv_depthwise3d_cuda_backward_input_kernelIffLi3ELi3ELi3ELin1ELin1ELin1ELi1ELi1ELi1EEEvN5torch10headeronly6detail27GenericPackedTensorAccessorINS5_14TensorAccessorIN3c108ArrayRefIlEEKT_Lm4ENS4_16DefaultPtrTraitsEiEENS_6detail16IndexBoundsCheckILm5EiEESC_Lm5ESD_iEENS6_INS7_ISA_SB_Lm4ESD_iEESH_SB_Lm5ESD_iEESI_iiiiiiiii
		.amdhsa_group_segment_fixed_size 0
		.amdhsa_private_segment_fixed_size 0
		.amdhsa_kernarg_size 440
		.amdhsa_user_sgpr_count 15
		.amdhsa_user_sgpr_dispatch_ptr 0
		.amdhsa_user_sgpr_queue_ptr 0
		.amdhsa_user_sgpr_kernarg_segment_ptr 1
		.amdhsa_user_sgpr_dispatch_id 0
		.amdhsa_user_sgpr_private_segment_size 0
		.amdhsa_wavefront_size32 1
		.amdhsa_uses_dynamic_stack 0
		.amdhsa_enable_private_segment 0
		.amdhsa_system_sgpr_workgroup_id_x 1
		.amdhsa_system_sgpr_workgroup_id_y 0
		.amdhsa_system_sgpr_workgroup_id_z 0
		.amdhsa_system_sgpr_workgroup_info 0
		.amdhsa_system_vgpr_workitem_id 0
		.amdhsa_next_free_vgpr 127
		.amdhsa_next_free_sgpr 76
		.amdhsa_reserve_vcc 1
		.amdhsa_float_round_mode_32 0
		.amdhsa_float_round_mode_16_64 0
		.amdhsa_float_denorm_mode_32 3
		.amdhsa_float_denorm_mode_16_64 3
		.amdhsa_dx10_clamp 1
		.amdhsa_ieee_mode 1
		.amdhsa_fp16_overflow 0
		.amdhsa_workgroup_processor_mode 1
		.amdhsa_memory_ordered 1
		.amdhsa_forward_progress 0
		.amdhsa_shared_vgpr_count 0
		.amdhsa_exception_fp_ieee_invalid_op 0
		.amdhsa_exception_fp_denorm_src 0
		.amdhsa_exception_fp_ieee_div_zero 0
		.amdhsa_exception_fp_ieee_overflow 0
		.amdhsa_exception_fp_ieee_underflow 0
		.amdhsa_exception_fp_ieee_inexact 0
		.amdhsa_exception_int_div_zero 0
	.end_amdhsa_kernel
	.section	.text._ZN2at6native12_GLOBAL__N_143conv_depthwise3d_cuda_backward_input_kernelIffLi3ELi3ELi3ELin1ELin1ELin1ELi1ELi1ELi1EEEvN5torch10headeronly6detail27GenericPackedTensorAccessorINS5_14TensorAccessorIN3c108ArrayRefIlEEKT_Lm4ENS4_16DefaultPtrTraitsEiEENS_6detail16IndexBoundsCheckILm5EiEESC_Lm5ESD_iEENS6_INS7_ISA_SB_Lm4ESD_iEESH_SB_Lm5ESD_iEESI_iiiiiiiii,"axG",@progbits,_ZN2at6native12_GLOBAL__N_143conv_depthwise3d_cuda_backward_input_kernelIffLi3ELi3ELi3ELin1ELin1ELin1ELi1ELi1ELi1EEEvN5torch10headeronly6detail27GenericPackedTensorAccessorINS5_14TensorAccessorIN3c108ArrayRefIlEEKT_Lm4ENS4_16DefaultPtrTraitsEiEENS_6detail16IndexBoundsCheckILm5EiEESC_Lm5ESD_iEENS6_INS7_ISA_SB_Lm4ESD_iEESH_SB_Lm5ESD_iEESI_iiiiiiiii,comdat
.Lfunc_end19:
	.size	_ZN2at6native12_GLOBAL__N_143conv_depthwise3d_cuda_backward_input_kernelIffLi3ELi3ELi3ELin1ELin1ELin1ELi1ELi1ELi1EEEvN5torch10headeronly6detail27GenericPackedTensorAccessorINS5_14TensorAccessorIN3c108ArrayRefIlEEKT_Lm4ENS4_16DefaultPtrTraitsEiEENS_6detail16IndexBoundsCheckILm5EiEESC_Lm5ESD_iEENS6_INS7_ISA_SB_Lm4ESD_iEESH_SB_Lm5ESD_iEESI_iiiiiiiii, .Lfunc_end19-_ZN2at6native12_GLOBAL__N_143conv_depthwise3d_cuda_backward_input_kernelIffLi3ELi3ELi3ELin1ELin1ELin1ELi1ELi1ELi1EEEvN5torch10headeronly6detail27GenericPackedTensorAccessorINS5_14TensorAccessorIN3c108ArrayRefIlEEKT_Lm4ENS4_16DefaultPtrTraitsEiEENS_6detail16IndexBoundsCheckILm5EiEESC_Lm5ESD_iEENS6_INS7_ISA_SB_Lm4ESD_iEESH_SB_Lm5ESD_iEESI_iiiiiiiii
                                        ; -- End function
	.section	.AMDGPU.csdata,"",@progbits
; Kernel info:
; codeLenInByte = 4276
; NumSgprs: 78
; NumVgprs: 127
; ScratchSize: 0
; MemoryBound: 0
; FloatMode: 240
; IeeeMode: 1
; LDSByteSize: 0 bytes/workgroup (compile time only)
; SGPRBlocks: 9
; VGPRBlocks: 15
; NumSGPRsForWavesPerEU: 78
; NumVGPRsForWavesPerEU: 127
; Occupancy: 10
; WaveLimiterHint : 0
; COMPUTE_PGM_RSRC2:SCRATCH_EN: 0
; COMPUTE_PGM_RSRC2:USER_SGPR: 15
; COMPUTE_PGM_RSRC2:TRAP_HANDLER: 0
; COMPUTE_PGM_RSRC2:TGID_X_EN: 1
; COMPUTE_PGM_RSRC2:TGID_Y_EN: 0
; COMPUTE_PGM_RSRC2:TGID_Z_EN: 0
; COMPUTE_PGM_RSRC2:TIDIG_COMP_CNT: 0
	.section	.text._ZN2at6native12_GLOBAL__N_143conv_depthwise3d_cuda_backward_input_kernelIffLi3ELi3ELi3ELin1ELin1ELin1ELin1ELin1ELin1EEEvN5torch10headeronly6detail27GenericPackedTensorAccessorINS5_14TensorAccessorIN3c108ArrayRefIlEEKT_Lm4ENS4_16DefaultPtrTraitsEiEENS_6detail16IndexBoundsCheckILm5EiEESC_Lm5ESD_iEENS6_INS7_ISA_SB_Lm4ESD_iEESH_SB_Lm5ESD_iEESI_iiiiiiiii,"axG",@progbits,_ZN2at6native12_GLOBAL__N_143conv_depthwise3d_cuda_backward_input_kernelIffLi3ELi3ELi3ELin1ELin1ELin1ELin1ELin1ELin1EEEvN5torch10headeronly6detail27GenericPackedTensorAccessorINS5_14TensorAccessorIN3c108ArrayRefIlEEKT_Lm4ENS4_16DefaultPtrTraitsEiEENS_6detail16IndexBoundsCheckILm5EiEESC_Lm5ESD_iEENS6_INS7_ISA_SB_Lm4ESD_iEESH_SB_Lm5ESD_iEESI_iiiiiiiii,comdat
	.globl	_ZN2at6native12_GLOBAL__N_143conv_depthwise3d_cuda_backward_input_kernelIffLi3ELi3ELi3ELin1ELin1ELin1ELin1ELin1ELin1EEEvN5torch10headeronly6detail27GenericPackedTensorAccessorINS5_14TensorAccessorIN3c108ArrayRefIlEEKT_Lm4ENS4_16DefaultPtrTraitsEiEENS_6detail16IndexBoundsCheckILm5EiEESC_Lm5ESD_iEENS6_INS7_ISA_SB_Lm4ESD_iEESH_SB_Lm5ESD_iEESI_iiiiiiiii ; -- Begin function _ZN2at6native12_GLOBAL__N_143conv_depthwise3d_cuda_backward_input_kernelIffLi3ELi3ELi3ELin1ELin1ELin1ELin1ELin1ELin1EEEvN5torch10headeronly6detail27GenericPackedTensorAccessorINS5_14TensorAccessorIN3c108ArrayRefIlEEKT_Lm4ENS4_16DefaultPtrTraitsEiEENS_6detail16IndexBoundsCheckILm5EiEESC_Lm5ESD_iEENS6_INS7_ISA_SB_Lm4ESD_iEESH_SB_Lm5ESD_iEESI_iiiiiiiii
	.p2align	8
	.type	_ZN2at6native12_GLOBAL__N_143conv_depthwise3d_cuda_backward_input_kernelIffLi3ELi3ELi3ELin1ELin1ELin1ELin1ELin1ELin1EEEvN5torch10headeronly6detail27GenericPackedTensorAccessorINS5_14TensorAccessorIN3c108ArrayRefIlEEKT_Lm4ENS4_16DefaultPtrTraitsEiEENS_6detail16IndexBoundsCheckILm5EiEESC_Lm5ESD_iEENS6_INS7_ISA_SB_Lm4ESD_iEESH_SB_Lm5ESD_iEESI_iiiiiiiii,@function
_ZN2at6native12_GLOBAL__N_143conv_depthwise3d_cuda_backward_input_kernelIffLi3ELi3ELi3ELin1ELin1ELin1ELin1ELin1ELin1EEEvN5torch10headeronly6detail27GenericPackedTensorAccessorINS5_14TensorAccessorIN3c108ArrayRefIlEEKT_Lm4ENS4_16DefaultPtrTraitsEiEENS_6detail16IndexBoundsCheckILm5EiEESC_Lm5ESD_iEENS6_INS7_ISA_SB_Lm4ESD_iEESH_SB_Lm5ESD_iEESI_iiiiiiiii: ; @_ZN2at6native12_GLOBAL__N_143conv_depthwise3d_cuda_backward_input_kernelIffLi3ELi3ELi3ELin1ELin1ELin1ELin1ELin1ELin1EEEvN5torch10headeronly6detail27GenericPackedTensorAccessorINS5_14TensorAccessorIN3c108ArrayRefIlEEKT_Lm4ENS4_16DefaultPtrTraitsEiEENS_6detail16IndexBoundsCheckILm5EiEESC_Lm5ESD_iEENS6_INS7_ISA_SB_Lm4ESD_iEESH_SB_Lm5ESD_iEESI_iiiiiiiii
; %bb.0:
	s_clause 0x2
	s_load_b128 s[60:63], s[0:1], 0x38
	s_load_b32 s4, s[0:1], 0xc4
	s_load_b64 s[92:93], s[0:1], 0x48
	s_mov_b32 s6, exec_lo
	s_waitcnt lgkmcnt(0)
	s_abs_i32 s76, s61
	s_add_u32 s2, s0, 0xb8
	v_cvt_f32_u32_e32 v1, s76
	s_addc_u32 s3, s1, 0
	s_and_b32 s4, s4, 0xffff
	s_mul_i32 s46, s93, s60
	s_delay_alu instid0(SALU_CYCLE_1) | instskip(SKIP_3) | instid1(VALU_DEP_1)
	s_ashr_i32 s47, s46, 31
	v_rcp_iflag_f32_e32 v2, v1
	s_waitcnt_depctr 0xfff
	v_dual_mov_b32 v1, 0 :: v_dual_mul_f32 v4, 0x4f7ffffe, v2
	v_mad_u64_u32 v[2:3], null, s4, s15, v[0:1]
	s_delay_alu instid0(VALU_DEP_2) | instskip(NEXT) | instid1(VALU_DEP_1)
	v_cvt_u32_f32_e32 v0, v4
	v_readfirstlane_b32 s5, v0
	s_delay_alu instid0(VALU_DEP_3)
	v_cmpx_gt_i64_e64 s[46:47], v[2:3]
	s_cbranch_execz .LBB20_60
; %bb.1:
	s_clause 0x4
	s_load_b32 s7, s[0:1], 0x7c
	s_load_b128 s[56:59], s[0:1], 0xc
	s_load_b64 s[8:9], s[0:1], 0x0
	s_load_b64 s[12:13], s[0:1], 0x60
	s_load_b128 s[16:19], s[0:1], 0x50
                                        ; implicit-def: $vgpr130 : SGPR spill to VGPR lane
	s_sub_i32 s6, 0, s76
	s_clause 0x1
	s_load_b256 s[48:55], s[0:1], 0x90
	s_load_b32 s10, s[0:1], 0xb0
	s_load_b32 s2, s[2:3], 0x0
	s_mul_i32 s3, s6, s5
	s_ashr_i32 s44, s61, 31
	s_mul_hi_u32 s3, s5, s3
	s_clause 0x1
	s_load_b64 s[70:71], s[0:1], 0x1c
	s_load_b64 s[42:43], s[0:1], 0x30
	s_add_i32 s5, s5, s3
	s_mov_b64 s[14:15], s[62:63]
	v_mul_lo_u32 v12, s6, v0
	s_mov_b32 s78, 0
	s_waitcnt lgkmcnt(0)
	v_writelane_b32 v130, s7, 0
	s_abs_i32 s3, s56
	s_ashr_i32 s7, s56, 31
	s_mul_hi_u32 s5, s3, s5
	s_xor_b32 s7, s7, s44
	v_writelane_b32 v130, s8, 1
	s_mul_i32 s40, s2, s4
	v_writelane_b32 v130, s9, 2
	s_mul_i32 s8, s5, s76
	s_delay_alu instid0(SALU_CYCLE_1)
	s_sub_i32 s3, s3, s8
	s_add_i32 s8, s5, 1
	v_writelane_b32 v130, s12, 3
	s_sub_i32 s9, s3, s76
	s_cmp_ge_u32 s3, s76
	s_cselect_b32 s0, s8, s5
	v_writelane_b32 v130, s13, 4
	s_cselect_b32 s1, s9, s3
	s_add_i32 s3, s0, 1
	s_cmp_ge_u32 s1, s76
	s_cselect_b32 s0, s3, s0
	v_writelane_b32 v130, s16, 5
	s_abs_i32 s85, s92
	s_abs_i32 s86, s15
	v_cvt_f32_u32_e32 v1, s85
	s_abs_i32 s87, s14
	v_writelane_b32 v130, s17, 6
	s_abs_i32 s88, s48
	v_cvt_f32_u32_e32 v4, s86
	v_rcp_iflag_f32_e32 v1, v1
	s_abs_i32 s89, s49
	v_writelane_b32 v130, s18, 7
	s_abs_i32 s90, s50
	v_cvt_f32_u32_e32 v5, s87
	v_cvt_f32_u32_e32 v6, s88
	;; [unrolled: 1-line block ×3, first 2 shown]
	v_writelane_b32 v130, s19, 8
	v_cvt_f32_u32_e32 v8, s90
	v_rcp_iflag_f32_e32 v4, v4
	s_lshl_b32 s1, s10, 1
	v_rcp_iflag_f32_e32 v5, v5
	v_writelane_b32 v130, s10, 9
	v_rcp_iflag_f32_e32 v6, v6
	v_rcp_iflag_f32_e32 v7, v7
	;; [unrolled: 1-line block ×3, first 2 shown]
	v_mul_f32_e32 v1, 0x4f7ffffe, v1
	v_writelane_b32 v130, s1, 10
	s_lshl_b32 s1, s55, 1
	v_mul_f32_e32 v4, 0x4f7ffffe, v4
	s_xor_b32 s0, s0, s7
	v_cvt_u32_f32_e32 v1, v1
	v_writelane_b32 v130, s1, 11
	s_lshl_b32 s1, s54, 1
	v_dual_mul_f32 v5, 0x4f7ffffe, v5 :: v_dual_mul_f32 v6, 0x4f7ffffe, v6
	v_dual_mul_f32 v7, 0x4f7ffffe, v7 :: v_dual_mul_f32 v8, 0x4f7ffffe, v8
	v_writelane_b32 v130, s1, 12
	s_sub_i32 s1, 0, s85
	s_delay_alu instid0(VALU_DEP_3)
	v_cvt_u32_f32_e32 v6, v6
	v_mul_lo_u32 v9, s1, v1
	v_cvt_u32_f32_e32 v4, v4
	v_cvt_u32_f32_e32 v5, v5
	;; [unrolled: 1-line block ×4, first 2 shown]
	s_sub_i32 s91, s0, s7
	s_sub_i32 s0, 0, s88
	;; [unrolled: 1-line block ×4, first 2 shown]
	v_mul_lo_u32 v13, s0, v6
	s_sub_i32 s0, 0, s89
	s_sub_i32 s1, 0, s90
	v_mul_lo_u32 v10, s2, v4
	v_mul_lo_u32 v11, s3, v5
	v_mul_hi_u32 v9, v1, v9
	v_mul_lo_u32 v14, s0, v7
	v_mul_lo_u32 v15, s1, v8
	s_ashr_i32 s77, s92, 31
	s_ashr_i32 s84, s15, 31
	;; [unrolled: 1-line block ×3, first 2 shown]
	v_mul_hi_u32 v10, v4, v10
	s_ashr_i32 s94, s48, 31
	v_add_nc_u32_e32 v60, v1, v9
	v_mul_hi_u32 v1, v5, v11
	v_mul_hi_u32 v9, v0, v12
	;; [unrolled: 1-line block ×5, first 2 shown]
	v_add_nc_u32_e32 v61, v4, v10
	s_ashr_i32 s95, s49, 31
	s_ashr_i32 s96, s50, 31
	v_add_nc_u32_e32 v62, v5, v1
	v_add_nc_u32_e32 v63, v0, v9
	;; [unrolled: 1-line block ×5, first 2 shown]
	s_mul_i32 s45, s71, s91
	s_branch .LBB20_3
.LBB20_2:                               ;   in Loop: Header=BB20_3 Depth=1
	s_or_b32 exec_lo, exec_lo, s98
	v_mul_lo_u32 v0, v71, s93
	v_readlane_b32 s0, v130, 5
	v_readlane_b32 s1, v130, 6
	;; [unrolled: 1-line block ×4, first 2 shown]
	v_add_co_u32 v2, vcc_lo, v2, s40
	v_mul_lo_u32 v4, s0, v69
	v_ashrrev_i32_e32 v1, 31, v0
	v_mul_lo_u32 v6, s1, v70
	v_mul_lo_u32 v8, s2, v68
	v_add_co_ci_u32_e32 v3, vcc_lo, 0, v3, vcc_lo
	s_delay_alu instid0(VALU_DEP_4)
	v_lshlrev_b64 v[0:1], 2, v[0:1]
	v_mul_lo_u32 v10, s3, v67
	v_ashrrev_i32_e32 v5, 31, v4
	v_ashrrev_i32_e32 v7, 31, v6
	;; [unrolled: 1-line block ×3, first 2 shown]
	v_add_co_u32 v12, vcc_lo, s42, v0
	s_delay_alu instid0(VALU_DEP_4) | instskip(SKIP_3) | instid1(VALU_DEP_4)
	v_lshlrev_b64 v[4:5], 2, v[4:5]
	v_add_co_ci_u32_e32 v13, vcc_lo, s43, v1, vcc_lo
	v_lshlrev_b64 v[0:1], 2, v[6:7]
	v_ashrrev_i32_e32 v11, 31, v10
	v_add_co_u32 v6, vcc_lo, v12, v4
	s_delay_alu instid0(VALU_DEP_4) | instskip(SKIP_1) | instid1(VALU_DEP_3)
	v_add_co_ci_u32_e32 v7, vcc_lo, v13, v5, vcc_lo
	v_lshlrev_b64 v[4:5], 2, v[8:9]
	v_add_co_u32 v6, vcc_lo, v6, v0
	s_delay_alu instid0(VALU_DEP_3) | instskip(SKIP_1) | instid1(VALU_DEP_3)
	v_add_co_ci_u32_e32 v7, vcc_lo, v7, v1, vcc_lo
	v_lshlrev_b64 v[0:1], 2, v[10:11]
	v_add_co_u32 v4, vcc_lo, v6, v4
	s_delay_alu instid0(VALU_DEP_3) | instskip(SKIP_1) | instid1(VALU_DEP_3)
	v_add_co_ci_u32_e32 v5, vcc_lo, v7, v5, vcc_lo
	v_cmp_le_i64_e32 vcc_lo, s[46:47], v[2:3]
	v_add_co_u32 v0, s0, v4, v0
	s_delay_alu instid0(VALU_DEP_1)
	v_add_co_ci_u32_e64 v1, s0, v5, v1, s0
	s_or_b32 s78, vcc_lo, s78
	global_store_b32 v[0:1], v74, off
	s_and_not1_b32 exec_lo, exec_lo, s78
	s_cbranch_execz .LBB20_60
.LBB20_3:                               ; =>This Loop Header: Depth=1
                                        ;     Child Loop BB20_6 Depth 2
	v_sub_nc_u32_e32 v0, 0, v2
	s_mov_b32 s1, s61
	s_mov_b64 s[2:3], s[62:63]
	v_mov_b32_e32 v74, 0
	s_mov_b32 s98, exec_lo
	v_max_i32_e32 v0, v2, v0
	s_delay_alu instid0(VALU_DEP_1) | instskip(NEXT) | instid1(VALU_DEP_1)
	v_mul_hi_u32 v1, v0, v60
	v_mul_lo_u32 v4, v1, s85
	s_delay_alu instid0(VALU_DEP_1) | instskip(SKIP_1) | instid1(VALU_DEP_2)
	v_sub_nc_u32_e32 v0, v0, v4
	v_add_nc_u32_e32 v4, 1, v1
	v_subrev_nc_u32_e32 v5, s85, v0
	v_cmp_le_u32_e32 vcc_lo, s85, v0
	s_delay_alu instid0(VALU_DEP_2) | instskip(SKIP_1) | instid1(VALU_DEP_2)
	v_dual_cndmask_b32 v1, v1, v4 :: v_dual_cndmask_b32 v0, v0, v5
	v_ashrrev_i32_e32 v4, 31, v2
	v_add_nc_u32_e32 v5, 1, v1
	s_delay_alu instid0(VALU_DEP_3) | instskip(NEXT) | instid1(VALU_DEP_3)
	v_cmp_le_u32_e32 vcc_lo, s85, v0
	v_xor_b32_e32 v4, s77, v4
	s_delay_alu instid0(VALU_DEP_3) | instskip(NEXT) | instid1(VALU_DEP_1)
	v_cndmask_b32_e32 v0, v1, v5, vcc_lo
	v_xor_b32_e32 v0, v0, v4
	s_delay_alu instid0(VALU_DEP_1) | instskip(NEXT) | instid1(VALU_DEP_1)
	v_sub_nc_u32_e32 v1, v0, v4
	v_sub_nc_u32_e32 v0, 0, v1
	s_delay_alu instid0(VALU_DEP_1) | instskip(NEXT) | instid1(VALU_DEP_1)
	v_max_i32_e32 v0, v1, v0
	v_mul_hi_u32 v4, v0, v61
	s_delay_alu instid0(VALU_DEP_1) | instskip(NEXT) | instid1(VALU_DEP_1)
	v_mul_lo_u32 v5, v4, s86
	v_sub_nc_u32_e32 v0, v0, v5
	v_add_nc_u32_e32 v5, 1, v4
	s_delay_alu instid0(VALU_DEP_2) | instskip(SKIP_1) | instid1(VALU_DEP_3)
	v_subrev_nc_u32_e32 v6, s86, v0
	v_cmp_le_u32_e32 vcc_lo, s86, v0
	v_cndmask_b32_e32 v4, v4, v5, vcc_lo
	s_delay_alu instid0(VALU_DEP_3) | instskip(SKIP_1) | instid1(VALU_DEP_3)
	v_cndmask_b32_e32 v0, v0, v6, vcc_lo
	v_ashrrev_i32_e32 v5, 31, v1
	v_add_nc_u32_e32 v6, 1, v4
	s_delay_alu instid0(VALU_DEP_3) | instskip(NEXT) | instid1(VALU_DEP_3)
	v_cmp_le_u32_e32 vcc_lo, s86, v0
	v_xor_b32_e32 v5, s84, v5
	s_delay_alu instid0(VALU_DEP_3) | instskip(NEXT) | instid1(VALU_DEP_1)
	v_cndmask_b32_e32 v0, v4, v6, vcc_lo
	v_xor_b32_e32 v0, v0, v5
	s_delay_alu instid0(VALU_DEP_1) | instskip(NEXT) | instid1(VALU_DEP_1)
	v_sub_nc_u32_e32 v4, v0, v5
	v_sub_nc_u32_e32 v0, 0, v4
	s_delay_alu instid0(VALU_DEP_1) | instskip(NEXT) | instid1(VALU_DEP_1)
	v_max_i32_e32 v0, v4, v0
	v_mul_hi_u32 v5, v0, v62
	s_delay_alu instid0(VALU_DEP_1) | instskip(NEXT) | instid1(VALU_DEP_1)
	v_mul_lo_u32 v6, v5, s87
	v_sub_nc_u32_e32 v0, v0, v6
	v_add_nc_u32_e32 v6, 1, v5
	s_delay_alu instid0(VALU_DEP_2) | instskip(SKIP_1) | instid1(VALU_DEP_2)
	v_subrev_nc_u32_e32 v7, s87, v0
	v_cmp_le_u32_e32 vcc_lo, s87, v0
	v_dual_cndmask_b32 v5, v5, v6 :: v_dual_cndmask_b32 v0, v0, v7
	v_ashrrev_i32_e32 v6, 31, v4
	s_delay_alu instid0(VALU_DEP_2) | instskip(NEXT) | instid1(VALU_DEP_3)
	v_add_nc_u32_e32 v7, 1, v5
	v_cmp_le_u32_e32 vcc_lo, s87, v0
	s_delay_alu instid0(VALU_DEP_3) | instskip(NEXT) | instid1(VALU_DEP_3)
	v_xor_b32_e32 v6, s73, v6
	v_cndmask_b32_e32 v0, v5, v7, vcc_lo
	s_delay_alu instid0(VALU_DEP_1) | instskip(NEXT) | instid1(VALU_DEP_1)
	v_xor_b32_e32 v0, v0, v6
	v_sub_nc_u32_e32 v5, v0, v6
	s_delay_alu instid0(VALU_DEP_1) | instskip(NEXT) | instid1(VALU_DEP_1)
	v_sub_nc_u32_e32 v0, 0, v5
	v_max_i32_e32 v0, v5, v0
	s_delay_alu instid0(VALU_DEP_1) | instskip(NEXT) | instid1(VALU_DEP_1)
	v_mul_hi_u32 v6, v0, v63
	v_mul_lo_u32 v7, v6, s76
	s_delay_alu instid0(VALU_DEP_1) | instskip(SKIP_1) | instid1(VALU_DEP_2)
	v_sub_nc_u32_e32 v0, v0, v7
	v_add_nc_u32_e32 v7, 1, v6
	v_subrev_nc_u32_e32 v8, s76, v0
	v_cmp_le_u32_e32 vcc_lo, s76, v0
	s_delay_alu instid0(VALU_DEP_3) | instskip(NEXT) | instid1(VALU_DEP_3)
	v_cndmask_b32_e32 v6, v6, v7, vcc_lo
	v_cndmask_b32_e32 v0, v0, v8, vcc_lo
	v_ashrrev_i32_e32 v7, 31, v5
	s_delay_alu instid0(VALU_DEP_3) | instskip(NEXT) | instid1(VALU_DEP_3)
	v_add_nc_u32_e32 v8, 1, v6
	v_cmp_le_u32_e32 vcc_lo, s76, v0
	s_delay_alu instid0(VALU_DEP_3) | instskip(NEXT) | instid1(VALU_DEP_3)
	v_xor_b32_e32 v7, s44, v7
	v_cndmask_b32_e32 v0, v6, v8, vcc_lo
	v_mul_lo_u32 v6, v1, s92
	s_delay_alu instid0(VALU_DEP_2) | instskip(NEXT) | instid1(VALU_DEP_2)
	v_xor_b32_e32 v0, v0, v7
	v_sub_nc_u32_e32 v67, v2, v6
	s_delay_alu instid0(VALU_DEP_2) | instskip(SKIP_1) | instid1(VALU_DEP_2)
	v_sub_nc_u32_e32 v71, v0, v7
	v_mul_lo_u32 v7, v4, s3
	v_mul_lo_u32 v0, v71, s1
	s_delay_alu instid0(VALU_DEP_2) | instskip(NEXT) | instid1(VALU_DEP_2)
	v_sub_nc_u32_e32 v68, v1, v7
	v_sub_nc_u32_e32 v69, v5, v0
	v_mul_lo_u32 v5, v5, s2
	s_delay_alu instid0(VALU_DEP_2) | instskip(NEXT) | instid1(VALU_DEP_2)
	v_mul_lo_u32 v0, v69, s91
	v_sub_nc_u32_e32 v70, v4, v5
	s_delay_alu instid0(VALU_DEP_2) | instskip(NEXT) | instid1(VALU_DEP_1)
	v_add_nc_u32_e32 v8, s91, v0
	v_cmpx_lt_i32_e64 v0, v8
	s_cbranch_execz .LBB20_2
; %bb.4:                                ;   in Loop: Header=BB20_3 Depth=1
	v_add_nc_u32_e32 v5, s53, v67
	v_readlane_b32 s0, v130, 0
	v_readlane_b32 s2, v130, 11
	s_mov_b64 s[64:65], s[42:43]
	s_mov_b32 s66, s73
	v_sub_nc_u32_e32 v1, 0, v5
	v_mul_lo_u32 v0, s0, v0
	v_readlane_b32 s0, v130, 9
	s_mov_b32 s73, s44
	s_mov_b32 s72, s40
	v_max_i32_e32 v1, v5, v1
	s_delay_alu instid0(VALU_DEP_1) | instskip(NEXT) | instid1(VALU_DEP_1)
	v_mul_hi_u32 v4, v1, v66
	v_mul_lo_u32 v6, v4, s90
	s_delay_alu instid0(VALU_DEP_1) | instskip(NEXT) | instid1(VALU_DEP_1)
	v_sub_nc_u32_e32 v1, v1, v6
	v_subrev_nc_u32_e32 v7, s90, v1
	v_cmp_le_u32_e32 vcc_lo, s90, v1
	s_delay_alu instid0(VALU_DEP_2) | instskip(NEXT) | instid1(VALU_DEP_1)
	v_dual_cndmask_b32 v1, v1, v7 :: v_dual_add_nc_u32 v6, 1, v4
	v_cndmask_b32_e32 v4, v4, v6, vcc_lo
	v_ashrrev_i32_e32 v6, 31, v5
	v_subrev_nc_u32_e32 v8, s0, v5
	v_readlane_b32 s0, v130, 10
	v_cmp_le_u32_e32 vcc_lo, s90, v1
	v_add_nc_u32_e32 v7, 1, v4
	v_xor_b32_e32 v6, s96, v6
	s_delay_alu instid0(VALU_DEP_2)
	v_cndmask_b32_e32 v1, v4, v7, vcc_lo
	v_subrev_nc_u32_e32 v7, s0, v5
	v_sub_nc_u32_e32 v4, 0, v8
	v_readlane_b32 s0, v130, 3
	v_readlane_b32 s1, v130, 4
	v_xor_b32_e32 v9, v1, v6
	v_sub_nc_u32_e32 v10, 0, v7
	v_max_i32_e32 v11, v8, v4
	v_ashrrev_i32_e32 v1, 31, v0
	s_delay_alu instid0(VALU_DEP_4) | instskip(NEXT) | instid1(VALU_DEP_4)
	v_sub_nc_u32_e32 v4, v9, v6
	v_max_i32_e32 v6, v7, v10
	s_delay_alu instid0(VALU_DEP_4) | instskip(NEXT) | instid1(VALU_DEP_4)
	v_mul_hi_u32 v9, v11, v66
	v_lshlrev_b64 v[0:1], 2, v[0:1]
	s_delay_alu instid0(VALU_DEP_4) | instskip(NEXT) | instid1(VALU_DEP_4)
	v_mul_lo_u32 v10, v4, s50
	v_mul_hi_u32 v12, v6, v66
	v_cmp_gt_i32_e64 s42, s59, v4
	s_delay_alu instid0(VALU_DEP_4)
	v_add_co_u32 v0, vcc_lo, s0, v0
	v_mul_lo_u32 v13, v9, s90
	v_add_co_ci_u32_e32 v1, vcc_lo, s1, v1, vcc_lo
	v_cmp_eq_u32_e32 vcc_lo, v10, v5
	v_add_nc_u32_e32 v10, s52, v68
	v_mul_lo_u32 v5, v12, s90
	v_sub_nc_u32_e32 v11, v11, v13
	s_delay_alu instid0(VALU_DEP_3) | instskip(NEXT) | instid1(VALU_DEP_3)
	v_subrev_nc_u32_e32 v13, s55, v10
	v_sub_nc_u32_e32 v5, v6, v5
	s_delay_alu instid0(VALU_DEP_2) | instskip(NEXT) | instid1(VALU_DEP_4)
	v_sub_nc_u32_e32 v6, 0, v13
	v_cmp_le_u32_e64 s0, s90, v11
	s_delay_alu instid0(VALU_DEP_2) | instskip(NEXT) | instid1(VALU_DEP_1)
	v_max_i32_e32 v6, v13, v6
	v_mul_hi_u32 v14, v6, v65
	s_delay_alu instid0(VALU_DEP_1) | instskip(NEXT) | instid1(VALU_DEP_1)
	v_mul_lo_u32 v15, v14, s89
	v_sub_nc_u32_e32 v6, v6, v15
	v_subrev_nc_u32_e32 v15, s90, v11
	s_delay_alu instid0(VALU_DEP_1) | instskip(SKIP_1) | instid1(VALU_DEP_1)
	v_cndmask_b32_e64 v11, v11, v15, s0
	v_add_nc_u32_e32 v15, 1, v9
	v_cndmask_b32_e64 v9, v9, v15, s0
	v_subrev_nc_u32_e32 v15, s90, v5
	v_cmp_le_u32_e64 s0, s90, v5
	s_delay_alu instid0(VALU_DEP_1) | instskip(SKIP_1) | instid1(VALU_DEP_1)
	v_cndmask_b32_e64 v5, v5, v15, s0
	v_add_nc_u32_e32 v15, 1, v12
	v_cndmask_b32_e64 v12, v12, v15, s0
	v_subrev_nc_u32_e32 v15, s89, v6
	v_cmp_le_u32_e64 s0, s89, v6
	s_delay_alu instid0(VALU_DEP_1) | instskip(SKIP_1) | instid1(VALU_DEP_1)
	v_cndmask_b32_e64 v15, v6, v15, s0
	v_add_nc_u32_e32 v6, 1, v14
	v_cndmask_b32_e64 v14, v14, v6, s0
	v_add_nc_u32_e32 v6, 1, v9
	v_cmp_le_u32_e64 s0, s90, v11
	v_sub_nc_u32_e32 v11, 0, v10
	s_delay_alu instid0(VALU_DEP_2) | instskip(SKIP_4) | instid1(VALU_DEP_3)
	v_cndmask_b32_e64 v6, v9, v6, s0
	v_cmp_le_u32_e64 s0, s90, v5
	v_ashrrev_i32_e32 v5, 31, v8
	v_add_nc_u32_e32 v9, 1, v12
	v_max_i32_e32 v11, v10, v11
	v_xor_b32_e32 v5, s96, v5
	s_delay_alu instid0(VALU_DEP_3) | instskip(SKIP_2) | instid1(VALU_DEP_4)
	v_cndmask_b32_e64 v9, v12, v9, s0
	v_cmp_le_u32_e64 s0, s89, v15
	v_ashrrev_i32_e32 v12, 31, v13
	v_xor_b32_e32 v6, v6, v5
	s_delay_alu instid0(VALU_DEP_2) | instskip(NEXT) | instid1(VALU_DEP_2)
	v_xor_b32_e32 v12, s95, v12
	v_sub_nc_u32_e32 v5, v6, v5
	v_ashrrev_i32_e32 v6, 31, v7
	s_delay_alu instid0(VALU_DEP_2) | instskip(NEXT) | instid1(VALU_DEP_2)
	v_cmp_gt_i32_e64 s43, s59, v5
	v_xor_b32_e32 v6, s96, v6
	s_delay_alu instid0(VALU_DEP_1) | instskip(NEXT) | instid1(VALU_DEP_1)
	v_xor_b32_e32 v9, v9, v6
	v_sub_nc_u32_e32 v6, v9, v6
	v_mul_lo_u32 v9, v5, s50
	s_delay_alu instid0(VALU_DEP_2) | instskip(NEXT) | instid1(VALU_DEP_2)
	v_cmp_gt_i32_e64 s44, s59, v6
	v_cmp_eq_u32_e64 s1, v9, v8
	v_mul_lo_u32 v9, v6, s50
	v_add_nc_u32_e32 v8, 1, v14
	s_delay_alu instid0(VALU_DEP_1) | instskip(NEXT) | instid1(VALU_DEP_3)
	v_cndmask_b32_e64 v8, v14, v8, s0
	v_cmp_eq_u32_e64 s0, v9, v7
	v_mul_hi_u32 v9, v11, v65
	s_delay_alu instid0(VALU_DEP_3) | instskip(NEXT) | instid1(VALU_DEP_1)
	v_xor_b32_e32 v7, v8, v12
	v_sub_nc_u32_e32 v7, v7, v12
	s_delay_alu instid0(VALU_DEP_3) | instskip(NEXT) | instid1(VALU_DEP_2)
	v_mul_lo_u32 v8, v9, s89
	v_mul_lo_u32 v12, v7, s49
	v_cmp_gt_i32_e64 s34, s58, v7
	s_delay_alu instid0(VALU_DEP_3) | instskip(SKIP_1) | instid1(VALU_DEP_4)
	v_sub_nc_u32_e32 v8, v11, v8
	v_subrev_nc_u32_e32 v11, s2, v10
	v_cmp_eq_u32_e64 s11, v12, v13
	s_delay_alu instid0(VALU_DEP_3) | instskip(NEXT) | instid1(VALU_DEP_3)
	v_subrev_nc_u32_e32 v12, s89, v8
	v_sub_nc_u32_e32 v13, 0, v11
	v_cmp_le_u32_e64 s2, s89, v8
	s_delay_alu instid0(VALU_DEP_2) | instskip(NEXT) | instid1(VALU_DEP_2)
	v_max_i32_e32 v13, v11, v13
	v_cndmask_b32_e64 v8, v8, v12, s2
	v_add_nc_u32_e32 v12, 1, v9
	s_delay_alu instid0(VALU_DEP_1) | instskip(NEXT) | instid1(VALU_DEP_4)
	v_cndmask_b32_e64 v9, v9, v12, s2
	v_mul_hi_u32 v12, v13, v65
	s_delay_alu instid0(VALU_DEP_4) | instskip(NEXT) | instid1(VALU_DEP_2)
	v_cmp_le_u32_e64 s2, s89, v8
	v_mul_lo_u32 v14, v12, s89
	s_delay_alu instid0(VALU_DEP_1) | instskip(SKIP_1) | instid1(VALU_DEP_1)
	v_sub_nc_u32_e32 v13, v13, v14
	v_add_nc_u32_e32 v14, 1, v9
	v_cndmask_b32_e64 v8, v9, v14, s2
	s_delay_alu instid0(VALU_DEP_3) | instskip(SKIP_1) | instid1(VALU_DEP_1)
	v_subrev_nc_u32_e32 v9, s89, v13
	v_cmp_le_u32_e64 s2, s89, v13
	v_cndmask_b32_e64 v13, v13, v9, s2
	v_add_nc_u32_e32 v9, 1, v12
	s_delay_alu instid0(VALU_DEP_1) | instskip(SKIP_1) | instid1(VALU_DEP_4)
	v_cndmask_b32_e64 v12, v12, v9, s2
	v_ashrrev_i32_e32 v9, 31, v10
	v_cmp_le_u32_e64 s2, s89, v13
	v_ashrrev_i32_e32 v13, 31, v11
	s_delay_alu instid0(VALU_DEP_3) | instskip(NEXT) | instid1(VALU_DEP_1)
	v_xor_b32_e32 v9, s95, v9
	v_xor_b32_e32 v8, v8, v9
	s_delay_alu instid0(VALU_DEP_1) | instskip(SKIP_1) | instid1(VALU_DEP_2)
	v_sub_nc_u32_e32 v9, v8, v9
	v_add_nc_u32_e32 v8, 1, v12
	v_cmp_gt_i32_e64 s37, s58, v9
	s_delay_alu instid0(VALU_DEP_2) | instskip(SKIP_2) | instid1(VALU_DEP_4)
	v_cndmask_b32_e64 v8, v12, v8, s2
	v_xor_b32_e32 v12, s95, v13
	v_mul_lo_u32 v13, v9, s49
	s_and_b32 s75, s42, s37
	s_and_b32 s81, s43, s37
	s_delay_alu instid0(VALU_DEP_2) | instskip(SKIP_1) | instid1(VALU_DEP_2)
	v_xor_b32_e32 v8, v8, v12
	s_and_b32 s82, s44, s37
	v_cmp_eq_u32_e64 s20, v13, v10
	s_delay_alu instid0(VALU_DEP_2) | instskip(SKIP_1) | instid1(VALU_DEP_2)
	v_sub_nc_u32_e32 v8, v8, v12
	v_add_nc_u32_e32 v12, s51, v70
	v_mul_lo_u32 v10, v8, s49
	s_delay_alu instid0(VALU_DEP_2) | instskip(SKIP_1) | instid1(VALU_DEP_3)
	v_subrev_nc_u32_e32 v13, s54, v12
	v_cmp_gt_i32_e64 s29, s58, v8
	v_cmp_eq_u32_e64 s24, v10, v11
	s_delay_alu instid0(VALU_DEP_3) | instskip(NEXT) | instid1(VALU_DEP_1)
	v_sub_nc_u32_e32 v10, 0, v13
	v_max_i32_e32 v10, v13, v10
	s_delay_alu instid0(VALU_DEP_1) | instskip(NEXT) | instid1(VALU_DEP_1)
	v_mul_hi_u32 v11, v10, v64
	v_mul_lo_u32 v14, v11, s88
	s_delay_alu instid0(VALU_DEP_1) | instskip(NEXT) | instid1(VALU_DEP_1)
	v_sub_nc_u32_e32 v10, v10, v14
	v_subrev_nc_u32_e32 v14, s88, v10
	v_cmp_le_u32_e64 s2, s88, v10
	s_delay_alu instid0(VALU_DEP_1) | instskip(SKIP_1) | instid1(VALU_DEP_1)
	v_cndmask_b32_e64 v10, v10, v14, s2
	v_add_nc_u32_e32 v14, 1, v11
	v_cndmask_b32_e64 v11, v11, v14, s2
	s_delay_alu instid0(VALU_DEP_3) | instskip(NEXT) | instid1(VALU_DEP_2)
	v_cmp_le_u32_e64 s2, s88, v10
	v_add_nc_u32_e32 v14, 1, v11
	s_delay_alu instid0(VALU_DEP_1) | instskip(SKIP_1) | instid1(VALU_DEP_1)
	v_cndmask_b32_e64 v10, v11, v14, s2
	v_ashrrev_i32_e32 v11, 31, v13
	v_xor_b32_e32 v11, s94, v11
	s_delay_alu instid0(VALU_DEP_1) | instskip(NEXT) | instid1(VALU_DEP_1)
	v_xor_b32_e32 v10, v10, v11
	v_sub_nc_u32_e32 v10, v10, v11
	s_delay_alu instid0(VALU_DEP_1) | instskip(SKIP_1) | instid1(VALU_DEP_2)
	v_mul_lo_u32 v11, v10, s48
	v_cmp_gt_i32_e64 s38, s57, v10
	v_cmp_eq_u32_e64 s18, v11, v13
	v_sub_nc_u32_e32 v11, 0, v12
	s_delay_alu instid0(VALU_DEP_2) | instskip(NEXT) | instid1(VALU_DEP_1)
	s_and_b32 s69, s18, s11
	v_max_i32_e32 v11, v12, v11
	s_and_b32 s83, s18, s24
	s_delay_alu instid0(VALU_DEP_1) | instskip(NEXT) | instid1(VALU_DEP_1)
	v_mul_hi_u32 v13, v11, v64
	v_mul_lo_u32 v14, v13, s88
	s_delay_alu instid0(VALU_DEP_1) | instskip(NEXT) | instid1(VALU_DEP_1)
	v_sub_nc_u32_e32 v11, v11, v14
	v_subrev_nc_u32_e32 v14, s88, v11
	v_cmp_le_u32_e64 s2, s88, v11
	s_delay_alu instid0(VALU_DEP_1) | instskip(SKIP_1) | instid1(VALU_DEP_1)
	v_cndmask_b32_e64 v11, v11, v14, s2
	v_add_nc_u32_e32 v14, 1, v13
	v_cndmask_b32_e64 v13, v13, v14, s2
	s_delay_alu instid0(VALU_DEP_3) | instskip(NEXT) | instid1(VALU_DEP_2)
	v_cmp_le_u32_e64 s2, s88, v11
	v_add_nc_u32_e32 v14, 1, v13
	s_delay_alu instid0(VALU_DEP_1) | instskip(SKIP_2) | instid1(VALU_DEP_2)
	v_cndmask_b32_e64 v11, v13, v14, s2
	v_ashrrev_i32_e32 v13, 31, v12
	v_readlane_b32 s2, v130, 12
	v_xor_b32_e32 v13, s94, v13
	s_delay_alu instid0(VALU_DEP_1) | instskip(NEXT) | instid1(VALU_DEP_1)
	v_xor_b32_e32 v11, v11, v13
	v_sub_nc_u32_e32 v13, v11, v13
	s_delay_alu instid0(VALU_DEP_1) | instskip(SKIP_1) | instid1(VALU_DEP_2)
	v_mul_lo_u32 v11, v13, s48
	v_cmp_gt_i32_e64 s36, s57, v13
	v_cmp_eq_u32_e64 s8, v11, v12
	v_subrev_nc_u32_e32 v11, s2, v12
	s_delay_alu instid0(VALU_DEP_2) | instskip(NEXT) | instid1(VALU_DEP_1)
	s_and_b32 s56, s8, s20
	v_sub_nc_u32_e32 v12, 0, v11
	s_delay_alu instid0(VALU_DEP_1) | instskip(NEXT) | instid1(VALU_DEP_1)
	v_max_i32_e32 v12, v11, v12
	v_mul_hi_u32 v14, v12, v64
	s_delay_alu instid0(VALU_DEP_1) | instskip(NEXT) | instid1(VALU_DEP_1)
	v_mul_lo_u32 v15, v14, s88
	v_sub_nc_u32_e32 v12, v12, v15
	s_delay_alu instid0(VALU_DEP_1) | instskip(SKIP_1) | instid1(VALU_DEP_1)
	v_subrev_nc_u32_e32 v15, s88, v12
	v_cmp_le_u32_e64 s2, s88, v12
	v_cndmask_b32_e64 v12, v12, v15, s2
	v_add_nc_u32_e32 v15, 1, v14
	s_delay_alu instid0(VALU_DEP_1) | instskip(NEXT) | instid1(VALU_DEP_3)
	v_cndmask_b32_e64 v14, v14, v15, s2
	v_cmp_le_u32_e64 s2, s88, v12
	s_delay_alu instid0(VALU_DEP_2) | instskip(NEXT) | instid1(VALU_DEP_1)
	v_add_nc_u32_e32 v15, 1, v14
	v_cndmask_b32_e64 v12, v14, v15, s2
	v_ashrrev_i32_e32 v14, 31, v11
	v_readlane_b32 s2, v130, 1
	v_readlane_b32 s3, v130, 2
	s_delay_alu instid0(VALU_DEP_3) | instskip(NEXT) | instid1(VALU_DEP_1)
	v_xor_b32_e32 v14, s94, v14
	v_xor_b32_e32 v12, v12, v14
	s_delay_alu instid0(VALU_DEP_1) | instskip(NEXT) | instid1(VALU_DEP_1)
	v_sub_nc_u32_e32 v14, v12, v14
	v_mul_lo_u32 v12, v14, s48
	v_cmp_gt_i32_e64 s28, s57, v14
	s_delay_alu instid0(VALU_DEP_2) | instskip(SKIP_1) | instid1(VALU_DEP_1)
	v_cmp_eq_u32_e64 s27, v12, v11
	v_mul_lo_u32 v11, s70, v71
	v_ashrrev_i32_e32 v12, 31, v11
	s_delay_alu instid0(VALU_DEP_1) | instskip(NEXT) | instid1(VALU_DEP_1)
	v_lshlrev_b64 v[11:12], 2, v[11:12]
	v_add_co_u32 v72, s2, s2, v11
	v_or_b32_e32 v11, v4, v9
	s_delay_alu instid0(VALU_DEP_3) | instskip(NEXT) | instid1(VALU_DEP_2)
	v_add_co_ci_u32_e64 v73, s2, s3, v12, s2
	v_or_b32_e32 v12, v11, v13
	s_delay_alu instid0(VALU_DEP_1) | instskip(SKIP_1) | instid1(VALU_DEP_2)
	v_cmp_lt_i32_e64 s2, -1, v12
	v_or_b32_e32 v12, v5, v9
	s_and_b32 s2, s42, s2
	s_delay_alu instid0(VALU_DEP_1) | instskip(SKIP_1) | instid1(SALU_CYCLE_1)
	v_or_b32_e32 v15, v12, v13
	s_and_b32 s2, s2, s37
	s_and_b32 s99, s2, s36
	s_delay_alu instid0(VALU_DEP_1) | instskip(SKIP_1) | instid1(VALU_DEP_2)
	v_cmp_lt_i32_e64 s3, -1, v15
	v_or_b32_e32 v15, v6, v9
	s_and_b32 s2, s43, s3
	s_delay_alu instid0(VALU_DEP_1) | instskip(SKIP_3) | instid1(VALU_DEP_1)
	v_or_b32_e32 v16, v15, v13
	s_and_b32 s3, s2, s37
	s_and_b32 s2, s56, vcc_lo
	s_and_b32 s100, s3, s36
	v_cmp_lt_i32_e64 s4, -1, v16
	v_or_b32_e32 v16, v4, v7
	s_delay_alu instid0(VALU_DEP_2) | instskip(NEXT) | instid1(VALU_DEP_1)
	s_and_b32 s3, s44, s4
	v_or_b32_e32 v17, v16, v13
	s_and_b32 s4, s3, s37
	s_and_b32 s3, s56, s1
	;; [unrolled: 1-line block ×4, first 2 shown]
	v_cmp_lt_i32_e64 s5, -1, v17
	v_or_b32_e32 v17, v5, v7
	s_and_b32 s56, s8, s11
	s_delay_alu instid0(VALU_DEP_2) | instskip(NEXT) | instid1(VALU_DEP_1)
	s_and_b32 s5, s42, s5
	v_or_b32_e32 v18, v17, v13
	s_and_b32 s5, s5, s34
	s_delay_alu instid0(SALU_CYCLE_1) | instskip(NEXT) | instid1(VALU_DEP_1)
	s_and_b32 s102, s5, s36
	v_cmp_lt_i32_e64 s6, -1, v18
	v_or_b32_e32 v18, v6, v7
	s_delay_alu instid0(VALU_DEP_2) | instskip(NEXT) | instid1(VALU_DEP_1)
	s_and_b32 s5, s43, s6
	v_or_b32_e32 v19, v18, v13
	s_and_b32 s6, s5, s34
	s_and_b32 s5, s56, vcc_lo
	s_and_b32 s103, s6, s36
	s_delay_alu instid0(VALU_DEP_1) | instskip(SKIP_1) | instid1(VALU_DEP_2)
	v_cmp_lt_i32_e64 s7, -1, v19
	v_or_b32_e32 v19, v4, v8
	s_and_b32 s6, s44, s7
	s_delay_alu instid0(VALU_DEP_1)
	v_or_b32_e32 v20, v19, v13
	s_and_b32 s7, s6, s34
	s_and_b32 s6, s56, s1
	;; [unrolled: 1-line block ×4, first 2 shown]
	v_cmp_lt_i32_e64 s9, -1, v20
	v_or_b32_e32 v20, v5, v8
	s_and_b32 s56, s8, s24
	s_and_b32 s24, s27, s24
	s_delay_alu instid0(VALU_DEP_2) | instskip(NEXT) | instid1(VALU_DEP_1)
	s_and_b32 s9, s42, s9
	v_or_b32_e32 v21, v20, v13
	s_and_b32 s9, s9, s29
	s_delay_alu instid0(SALU_CYCLE_1) | instskip(NEXT) | instid1(VALU_DEP_1)
	s_and_b32 vcc_hi, s9, s36
	v_cmp_lt_i32_e64 s10, -1, v21
	v_or_b32_e32 v21, v6, v8
	s_delay_alu instid0(VALU_DEP_2) | instskip(NEXT) | instid1(VALU_DEP_1)
	s_and_b32 s8, s43, s10
	v_or_b32_e32 v22, v21, v13
	s_and_b32 s9, s8, s29
	s_and_b32 s8, s56, vcc_lo
	s_and_b32 s80, s9, s36
	s_delay_alu instid0(VALU_DEP_1) | instskip(SKIP_2) | instid1(VALU_DEP_3)
	v_cmp_lt_i32_e64 s35, -1, v22
	v_or_b32_e32 v22, v11, v10
	v_or_b32_e32 v11, v11, v14
	s_and_b32 s9, s44, s35
	s_delay_alu instid0(VALU_DEP_2) | instskip(SKIP_1) | instid1(VALU_DEP_3)
	v_cmp_lt_i32_e64 s31, -1, v22
	v_or_b32_e32 v22, v12, v10
	v_cmp_lt_i32_e64 s22, -1, v11
	v_or_b32_e32 v11, v12, v14
	v_or_b32_e32 v12, v19, v14
	s_and_b32 s10, s9, s29
	v_cmp_lt_i32_e64 s12, -1, v22
	v_or_b32_e32 v22, v15, v10
	v_cmp_lt_i32_e64 s23, -1, v11
	v_or_b32_e32 v11, v15, v14
	v_or_b32_e32 v15, v21, v14
	s_and_b32 s22, s75, s22
	v_cmp_lt_i32_e64 s13, -1, v22
	v_or_b32_e32 v22, v16, v10
	v_cmp_lt_i32_e64 s25, -1, v11
	v_or_b32_e32 v11, v16, v14
	v_cmp_lt_i32_e64 s41, -1, v15
	s_and_b32 s9, s56, s1
	v_cmp_lt_i32_e64 s14, -1, v22
	v_or_b32_e32 v22, v17, v10
	v_cmp_lt_i32_e64 s26, -1, v11
	v_or_b32_e32 v11, v17, v14
	s_and_b32 s35, s10, s36
	s_and_b32 s10, s56, s0
	v_cmp_lt_i32_e64 s15, -1, v22
	v_or_b32_e32 v22, v18, v10
	v_cmp_lt_i32_e64 s30, -1, v11
	v_or_b32_e32 v11, v18, v14
	s_and_b32 s31, s75, s31
	s_and_b32 s56, s18, s20
	v_cmp_lt_i32_e64 s16, -1, v22
	v_or_b32_e32 v22, v19, v10
	v_cmp_lt_i32_e64 s33, -1, v11
	v_mul_lo_u32 v11, v13, s58
	v_or_b32_e32 v13, v20, v14
	v_mul_lo_u32 v14, v14, s58
	v_cmp_lt_i32_e64 s17, -1, v22
	v_or_b32_e32 v22, v20, v10
	s_and_b32 s68, s42, s14
	v_cmp_lt_i32_e64 s40, -1, v13
	s_and_b32 s75, s22, s28
	v_add_nc_u32_e32 v16, v9, v11
	v_cmp_lt_i32_e64 s21, -1, v22
	v_or_b32_e32 v22, v21, v10
	v_mul_lo_u32 v10, v10, s58
	v_add_nc_u32_e32 v17, v7, v11
	v_add_nc_u32_e32 v18, v8, v11
	;; [unrolled: 1-line block ×5, first 2 shown]
	v_mul_lo_u32 v11, v16, s59
	v_mul_lo_u32 v17, v17, s59
	v_add_nc_u32_e32 v23, v9, v10
	v_add_nc_u32_e32 v29, v7, v10
	;; [unrolled: 1-line block ×3, first 2 shown]
	v_mul_lo_u32 v24, v18, s59
	v_mul_lo_u32 v48, v41, s59
	;; [unrolled: 1-line block ×7, first 2 shown]
	v_add_nc_u32_e32 v7, v4, v11
	v_add_nc_u32_e32 v9, v5, v11
	;; [unrolled: 1-line block ×19, first 2 shown]
	s_and_b32 s22, s81, s23
	v_add_nc_u32_e32 v45, v5, v48
	s_and_b32 s23, s82, s25
	v_add_nc_u32_e32 v47, v6, v48
	;; [unrolled: 2-line block ×3, first 2 shown]
	v_add_nc_u32_e32 v51, v5, v54
	v_add_nc_u32_e32 v53, v6, v54
	;; [unrolled: 1-line block ×4, first 2 shown]
	s_and_b32 s36, s81, s12
	s_and_b32 s12, s56, vcc_lo
	s_and_b32 s37, s82, s13
	s_and_b32 s13, s56, s1
	;; [unrolled: 1-line block ×8, first 2 shown]
	v_add_nc_u32_e32 v74, v6, v58
	v_cmp_lt_i32_e64 s19, -1, v22
	v_cmp_lt_i32_e64 s39, -1, v12
	s_and_b32 s79, s56, s38
	s_and_b32 s56, s15, s34
	;; [unrolled: 1-line block ×5, first 2 shown]
	v_ashrrev_i32_e32 v8, 31, v7
	v_ashrrev_i32_e32 v10, 31, v9
	;; [unrolled: 1-line block ×26, first 2 shown]
	s_and_b32 s97, s56, s38
	s_and_b32 s56, s16, s34
	;; [unrolled: 1-line block ×5, first 2 shown]
	v_ashrrev_i32_e32 v75, 31, v74
	s_and_b32 s68, s56, s38
	s_and_b32 s56, s42, s17
	;; [unrolled: 1-line block ×10, first 2 shown]
	v_lshlrev_b64 v[4:5], 2, v[7:8]
	v_lshlrev_b64 v[6:7], 2, v[9:10]
	;; [unrolled: 1-line block ×26, first 2 shown]
	v_mul_lo_u32 v58, s45, v69
	s_and_b32 s31, s31, s38
	s_and_b32 s36, s36, s38
	;; [unrolled: 1-line block ×3, first 2 shown]
	s_and_b32 s15, s69, vcc_lo
	s_and_b32 s16, s69, s1
	s_and_b32 s17, s69, s0
	;; [unrolled: 1-line block ×3, first 2 shown]
	s_and_b32 s18, s83, vcc_lo
	s_and_b32 s19, s83, s1
	s_and_b32 s38, s21, s38
	;; [unrolled: 1-line block ×7, first 2 shown]
	v_lshlrev_b64 v[56:57], 2, v[74:75]
	v_mov_b32_e32 v74, 0
	s_and_b32 s34, s34, s29
	s_and_b32 s29, s39, s29
	s_and_b32 s20, s83, vcc_lo
	s_and_b32 s56, s22, s28
	s_and_b32 s22, s83, s1
	;; [unrolled: 1-line block ×4, first 2 shown]
	s_and_b32 s11, s26, vcc_lo
	s_and_b32 s25, s26, s1
	s_and_b32 s33, s33, s28
	;; [unrolled: 1-line block ×3, first 2 shown]
	s_mov_b64 s[42:43], s[64:65]
	s_mov_b32 s40, s72
	s_and_b32 vcc_lo, s24, vcc_lo
	s_and_b32 s34, s34, s28
	s_mov_b32 s44, s73
	s_mov_b32 s73, s66
	s_and_b32 s1, s24, s1
	s_and_b32 s28, s29, s28
	;; [unrolled: 1-line block ×3, first 2 shown]
	s_mov_b32 s29, s91
	s_branch .LBB20_6
.LBB20_5:                               ;   in Loop: Header=BB20_6 Depth=2
	s_or_b32 exec_lo, exec_lo, s39
	s_waitcnt vmcnt(26)
	v_fma_f32 v59, v75, v59, v74
	v_add_co_u32 v0, s24, 0x6c, v0
	s_delay_alu instid0(VALU_DEP_1) | instskip(NEXT) | instid1(VALU_DEP_3)
	v_add_co_ci_u32_e64 v1, s24, 0, v1, s24
	v_cndmask_b32_e64 v59, v74, v59, s2
	v_add_nc_u32_e32 v58, s71, v58
	s_add_i32 s29, s29, -1
	s_delay_alu instid0(SALU_CYCLE_1) | instskip(SKIP_2) | instid1(VALU_DEP_1)
	s_cmp_eq_u32 s29, 0
	s_waitcnt vmcnt(25)
	v_fma_f32 v74, v78, v80, v59
	v_cndmask_b32_e64 v59, v59, v74, s3
	s_waitcnt vmcnt(24)
	s_delay_alu instid0(VALU_DEP_1) | instskip(NEXT) | instid1(VALU_DEP_1)
	v_fma_f32 v74, v81, v79, v59
	v_cndmask_b32_e64 v59, v59, v74, s4
	s_waitcnt vmcnt(23)
	s_delay_alu instid0(VALU_DEP_1) | instskip(NEXT) | instid1(VALU_DEP_1)
	;; [unrolled: 4-line block ×23, first 2 shown]
	v_fma_f32 v74, v125, v123, v59
	v_cndmask_b32_e32 v59, v59, v74, vcc_lo
	s_waitcnt vmcnt(1)
	s_delay_alu instid0(VALU_DEP_1) | instskip(NEXT) | instid1(VALU_DEP_1)
	v_fma_f32 v74, v127, v128, v59
	v_cndmask_b32_e64 v59, v59, v74, s1
	s_waitcnt vmcnt(0)
	s_delay_alu instid0(VALU_DEP_1) | instskip(NEXT) | instid1(VALU_DEP_1)
	v_fma_f32 v74, v129, v126, v59
	v_cndmask_b32_e64 v74, v59, v74, s0
	s_cbranch_scc1 .LBB20_2
.LBB20_6:                               ;   Parent Loop BB20_3 Depth=1
                                        ; =>  This Inner Loop Header: Depth=2
	global_load_b32 v75, v[0:1], off
	v_ashrrev_i32_e32 v59, 31, v58
	s_delay_alu instid0(VALU_DEP_1) | instskip(SKIP_1) | instid1(VALU_DEP_2)
	v_lshlrev_b64 v[76:77], 2, v[58:59]
	v_mov_b32_e32 v59, 0
	v_add_co_u32 v76, s24, v72, v76
	s_delay_alu instid0(VALU_DEP_1)
	v_add_co_ci_u32_e64 v77, s24, v73, v77, s24
	s_and_saveexec_b32 s39, s99
	s_cbranch_execz .LBB20_8
; %bb.7:                                ;   in Loop: Header=BB20_6 Depth=2
	s_delay_alu instid0(VALU_DEP_2) | instskip(NEXT) | instid1(VALU_DEP_1)
	v_add_co_u32 v78, s24, v76, v4
	v_add_co_ci_u32_e64 v79, s24, v77, v5, s24
	global_load_b32 v59, v[78:79], off
.LBB20_8:                               ;   in Loop: Header=BB20_6 Depth=2
	s_or_b32 exec_lo, exec_lo, s39
	global_load_b32 v78, v[0:1], off offset:4
	v_dual_mov_b32 v79, 0 :: v_dual_mov_b32 v80, 0
	s_and_saveexec_b32 s39, s100
	s_cbranch_execz .LBB20_10
; %bb.9:                                ;   in Loop: Header=BB20_6 Depth=2
	v_add_co_u32 v80, s24, v76, v6
	s_delay_alu instid0(VALU_DEP_1)
	v_add_co_ci_u32_e64 v81, s24, v77, v7, s24
	global_load_b32 v80, v[80:81], off
.LBB20_10:                              ;   in Loop: Header=BB20_6 Depth=2
	s_or_b32 exec_lo, exec_lo, s39
	global_load_b32 v81, v[0:1], off offset:8
	s_and_saveexec_b32 s39, s101
	s_cbranch_execz .LBB20_12
; %bb.11:                               ;   in Loop: Header=BB20_6 Depth=2
	v_add_co_u32 v82, s24, v76, v8
	s_delay_alu instid0(VALU_DEP_1)
	v_add_co_ci_u32_e64 v83, s24, v77, v9, s24
	global_load_b32 v79, v[82:83], off
.LBB20_12:                              ;   in Loop: Header=BB20_6 Depth=2
	s_or_b32 exec_lo, exec_lo, s39
	global_load_b32 v82, v[0:1], off offset:12
	v_dual_mov_b32 v83, 0 :: v_dual_mov_b32 v84, 0
	s_and_saveexec_b32 s39, s102
	s_cbranch_execz .LBB20_14
; %bb.13:                               ;   in Loop: Header=BB20_6 Depth=2
	v_add_co_u32 v84, s24, v76, v10
	s_delay_alu instid0(VALU_DEP_1)
	v_add_co_ci_u32_e64 v85, s24, v77, v11, s24
	global_load_b32 v84, v[84:85], off
.LBB20_14:                              ;   in Loop: Header=BB20_6 Depth=2
	s_or_b32 exec_lo, exec_lo, s39
	global_load_b32 v85, v[0:1], off offset:16
	s_and_saveexec_b32 s39, s103
	s_cbranch_execz .LBB20_16
; %bb.15:                               ;   in Loop: Header=BB20_6 Depth=2
	v_add_co_u32 v86, s24, v76, v12
	s_delay_alu instid0(VALU_DEP_1)
	v_add_co_ci_u32_e64 v87, s24, v77, v13, s24
	global_load_b32 v83, v[86:87], off
.LBB20_16:                              ;   in Loop: Header=BB20_6 Depth=2
	s_or_b32 exec_lo, exec_lo, s39
	global_load_b32 v86, v[0:1], off offset:20
	v_dual_mov_b32 v87, 0 :: v_dual_mov_b32 v88, 0
	s_and_saveexec_b32 s39, s104
	s_cbranch_execz .LBB20_18
; %bb.17:                               ;   in Loop: Header=BB20_6 Depth=2
	v_add_co_u32 v88, s24, v76, v14
	s_delay_alu instid0(VALU_DEP_1)
	v_add_co_ci_u32_e64 v89, s24, v77, v15, s24
	global_load_b32 v88, v[88:89], off
.LBB20_18:                              ;   in Loop: Header=BB20_6 Depth=2
	s_or_b32 exec_lo, exec_lo, s39
	global_load_b32 v89, v[0:1], off offset:24
	s_and_saveexec_b32 s39, vcc_hi
	s_cbranch_execz .LBB20_20
; %bb.19:                               ;   in Loop: Header=BB20_6 Depth=2
	v_add_co_u32 v90, s24, v76, v16
	s_delay_alu instid0(VALU_DEP_1)
	v_add_co_ci_u32_e64 v91, s24, v77, v17, s24
	global_load_b32 v87, v[90:91], off
.LBB20_20:                              ;   in Loop: Header=BB20_6 Depth=2
	s_or_b32 exec_lo, exec_lo, s39
	global_load_b32 v90, v[0:1], off offset:28
	v_dual_mov_b32 v91, 0 :: v_dual_mov_b32 v92, 0
	s_and_saveexec_b32 s39, s80
	s_cbranch_execz .LBB20_22
; %bb.21:                               ;   in Loop: Header=BB20_6 Depth=2
	v_add_co_u32 v92, s24, v76, v18
	s_delay_alu instid0(VALU_DEP_1)
	v_add_co_ci_u32_e64 v93, s24, v77, v19, s24
	global_load_b32 v92, v[92:93], off
.LBB20_22:                              ;   in Loop: Header=BB20_6 Depth=2
	s_or_b32 exec_lo, exec_lo, s39
	global_load_b32 v93, v[0:1], off offset:32
	s_and_saveexec_b32 s39, s35
	s_cbranch_execz .LBB20_24
; %bb.23:                               ;   in Loop: Header=BB20_6 Depth=2
	v_add_co_u32 v94, s24, v76, v20
	s_delay_alu instid0(VALU_DEP_1)
	v_add_co_ci_u32_e64 v95, s24, v77, v21, s24
	global_load_b32 v91, v[94:95], off
.LBB20_24:                              ;   in Loop: Header=BB20_6 Depth=2
	s_or_b32 exec_lo, exec_lo, s39
	global_load_b32 v94, v[0:1], off offset:36
	v_dual_mov_b32 v95, 0 :: v_dual_mov_b32 v96, 0
	s_and_saveexec_b32 s39, s31
	s_cbranch_execz .LBB20_26
; %bb.25:                               ;   in Loop: Header=BB20_6 Depth=2
	v_add_co_u32 v96, s24, v76, v22
	s_delay_alu instid0(VALU_DEP_1)
	v_add_co_ci_u32_e64 v97, s24, v77, v23, s24
	global_load_b32 v96, v[96:97], off
.LBB20_26:                              ;   in Loop: Header=BB20_6 Depth=2
	s_or_b32 exec_lo, exec_lo, s39
	global_load_b32 v97, v[0:1], off offset:40
	s_and_saveexec_b32 s39, s36
	;; [unrolled: 21-line block ×9, first 2 shown]
	s_cbranch_execz .LBB20_56
; %bb.55:                               ;   in Loop: Header=BB20_6 Depth=2
	v_add_co_u32 v126, s24, v76, v52
	s_delay_alu instid0(VALU_DEP_1)
	v_add_co_ci_u32_e64 v127, s24, v77, v53, s24
	global_load_b32 v123, v[126:127], off
.LBB20_56:                              ;   in Loop: Header=BB20_6 Depth=2
	s_or_b32 exec_lo, exec_lo, s39
	global_load_b32 v127, v[0:1], off offset:100
	v_mov_b32_e32 v126, 0
	v_mov_b32_e32 v128, 0
	s_and_saveexec_b32 s39, s34
	s_cbranch_execz .LBB20_58
; %bb.57:                               ;   in Loop: Header=BB20_6 Depth=2
	v_add_co_u32 v128, s24, v76, v54
	s_delay_alu instid0(VALU_DEP_1)
	v_add_co_ci_u32_e64 v129, s24, v77, v55, s24
	global_load_b32 v128, v[128:129], off
.LBB20_58:                              ;   in Loop: Header=BB20_6 Depth=2
	s_or_b32 exec_lo, exec_lo, s39
	global_load_b32 v129, v[0:1], off offset:104
	s_and_saveexec_b32 s39, s28
	s_cbranch_execz .LBB20_5
; %bb.59:                               ;   in Loop: Header=BB20_6 Depth=2
	v_add_co_u32 v76, s24, v76, v56
	s_delay_alu instid0(VALU_DEP_1)
	v_add_co_ci_u32_e64 v77, s24, v77, v57, s24
	global_load_b32 v126, v[76:77], off
	s_branch .LBB20_5
.LBB20_60:
	s_nop 0
	s_sendmsg sendmsg(MSG_DEALLOC_VGPRS)
	s_endpgm
	.section	.rodata,"a",@progbits
	.p2align	6, 0x0
	.amdhsa_kernel _ZN2at6native12_GLOBAL__N_143conv_depthwise3d_cuda_backward_input_kernelIffLi3ELi3ELi3ELin1ELin1ELin1ELin1ELin1ELin1EEEvN5torch10headeronly6detail27GenericPackedTensorAccessorINS5_14TensorAccessorIN3c108ArrayRefIlEEKT_Lm4ENS4_16DefaultPtrTraitsEiEENS_6detail16IndexBoundsCheckILm5EiEESC_Lm5ESD_iEENS6_INS7_ISA_SB_Lm4ESD_iEESH_SB_Lm5ESD_iEESI_iiiiiiiii
		.amdhsa_group_segment_fixed_size 0
		.amdhsa_private_segment_fixed_size 0
		.amdhsa_kernarg_size 440
		.amdhsa_user_sgpr_count 15
		.amdhsa_user_sgpr_dispatch_ptr 0
		.amdhsa_user_sgpr_queue_ptr 0
		.amdhsa_user_sgpr_kernarg_segment_ptr 1
		.amdhsa_user_sgpr_dispatch_id 0
		.amdhsa_user_sgpr_private_segment_size 0
		.amdhsa_wavefront_size32 1
		.amdhsa_uses_dynamic_stack 0
		.amdhsa_enable_private_segment 0
		.amdhsa_system_sgpr_workgroup_id_x 1
		.amdhsa_system_sgpr_workgroup_id_y 0
		.amdhsa_system_sgpr_workgroup_id_z 0
		.amdhsa_system_sgpr_workgroup_info 0
		.amdhsa_system_vgpr_workitem_id 0
		.amdhsa_next_free_vgpr 131
		.amdhsa_next_free_sgpr 105
		.amdhsa_reserve_vcc 1
		.amdhsa_float_round_mode_32 0
		.amdhsa_float_round_mode_16_64 0
		.amdhsa_float_denorm_mode_32 3
		.amdhsa_float_denorm_mode_16_64 3
		.amdhsa_dx10_clamp 1
		.amdhsa_ieee_mode 1
		.amdhsa_fp16_overflow 0
		.amdhsa_workgroup_processor_mode 1
		.amdhsa_memory_ordered 1
		.amdhsa_forward_progress 0
		.amdhsa_shared_vgpr_count 0
		.amdhsa_exception_fp_ieee_invalid_op 0
		.amdhsa_exception_fp_denorm_src 0
		.amdhsa_exception_fp_ieee_div_zero 0
		.amdhsa_exception_fp_ieee_overflow 0
		.amdhsa_exception_fp_ieee_underflow 0
		.amdhsa_exception_fp_ieee_inexact 0
		.amdhsa_exception_int_div_zero 0
	.end_amdhsa_kernel
	.section	.text._ZN2at6native12_GLOBAL__N_143conv_depthwise3d_cuda_backward_input_kernelIffLi3ELi3ELi3ELin1ELin1ELin1ELin1ELin1ELin1EEEvN5torch10headeronly6detail27GenericPackedTensorAccessorINS5_14TensorAccessorIN3c108ArrayRefIlEEKT_Lm4ENS4_16DefaultPtrTraitsEiEENS_6detail16IndexBoundsCheckILm5EiEESC_Lm5ESD_iEENS6_INS7_ISA_SB_Lm4ESD_iEESH_SB_Lm5ESD_iEESI_iiiiiiiii,"axG",@progbits,_ZN2at6native12_GLOBAL__N_143conv_depthwise3d_cuda_backward_input_kernelIffLi3ELi3ELi3ELin1ELin1ELin1ELin1ELin1ELin1EEEvN5torch10headeronly6detail27GenericPackedTensorAccessorINS5_14TensorAccessorIN3c108ArrayRefIlEEKT_Lm4ENS4_16DefaultPtrTraitsEiEENS_6detail16IndexBoundsCheckILm5EiEESC_Lm5ESD_iEENS6_INS7_ISA_SB_Lm4ESD_iEESH_SB_Lm5ESD_iEESI_iiiiiiiii,comdat
.Lfunc_end20:
	.size	_ZN2at6native12_GLOBAL__N_143conv_depthwise3d_cuda_backward_input_kernelIffLi3ELi3ELi3ELin1ELin1ELin1ELin1ELin1ELin1EEEvN5torch10headeronly6detail27GenericPackedTensorAccessorINS5_14TensorAccessorIN3c108ArrayRefIlEEKT_Lm4ENS4_16DefaultPtrTraitsEiEENS_6detail16IndexBoundsCheckILm5EiEESC_Lm5ESD_iEENS6_INS7_ISA_SB_Lm4ESD_iEESH_SB_Lm5ESD_iEESI_iiiiiiiii, .Lfunc_end20-_ZN2at6native12_GLOBAL__N_143conv_depthwise3d_cuda_backward_input_kernelIffLi3ELi3ELi3ELin1ELin1ELin1ELin1ELin1ELin1EEEvN5torch10headeronly6detail27GenericPackedTensorAccessorINS5_14TensorAccessorIN3c108ArrayRefIlEEKT_Lm4ENS4_16DefaultPtrTraitsEiEENS_6detail16IndexBoundsCheckILm5EiEESC_Lm5ESD_iEENS6_INS7_ISA_SB_Lm4ESD_iEESH_SB_Lm5ESD_iEESI_iiiiiiiii
                                        ; -- End function
	.section	.AMDGPU.csdata,"",@progbits
; Kernel info:
; codeLenInByte = 6672
; NumSgprs: 107
; NumVgprs: 131
; ScratchSize: 0
; MemoryBound: 0
; FloatMode: 240
; IeeeMode: 1
; LDSByteSize: 0 bytes/workgroup (compile time only)
; SGPRBlocks: 13
; VGPRBlocks: 16
; NumSGPRsForWavesPerEU: 107
; NumVGPRsForWavesPerEU: 131
; Occupancy: 10
; WaveLimiterHint : 0
; COMPUTE_PGM_RSRC2:SCRATCH_EN: 0
; COMPUTE_PGM_RSRC2:USER_SGPR: 15
; COMPUTE_PGM_RSRC2:TRAP_HANDLER: 0
; COMPUTE_PGM_RSRC2:TGID_X_EN: 1
; COMPUTE_PGM_RSRC2:TGID_Y_EN: 0
; COMPUTE_PGM_RSRC2:TGID_Z_EN: 0
; COMPUTE_PGM_RSRC2:TIDIG_COMP_CNT: 0
	.section	.text._ZN2at6native12_GLOBAL__N_143conv_depthwise3d_cuda_backward_input_kernelIffLin1ELin1ELin1ELin1ELin1ELin1ELin1ELin1ELin1EEEvN5torch10headeronly6detail27GenericPackedTensorAccessorINS5_14TensorAccessorIN3c108ArrayRefIlEEKT_Lm4ENS4_16DefaultPtrTraitsEiEENS_6detail16IndexBoundsCheckILm5EiEESC_Lm5ESD_iEENS6_INS7_ISA_SB_Lm4ESD_iEESH_SB_Lm5ESD_iEESI_iiiiiiiii,"axG",@progbits,_ZN2at6native12_GLOBAL__N_143conv_depthwise3d_cuda_backward_input_kernelIffLin1ELin1ELin1ELin1ELin1ELin1ELin1ELin1ELin1EEEvN5torch10headeronly6detail27GenericPackedTensorAccessorINS5_14TensorAccessorIN3c108ArrayRefIlEEKT_Lm4ENS4_16DefaultPtrTraitsEiEENS_6detail16IndexBoundsCheckILm5EiEESC_Lm5ESD_iEENS6_INS7_ISA_SB_Lm4ESD_iEESH_SB_Lm5ESD_iEESI_iiiiiiiii,comdat
	.globl	_ZN2at6native12_GLOBAL__N_143conv_depthwise3d_cuda_backward_input_kernelIffLin1ELin1ELin1ELin1ELin1ELin1ELin1ELin1ELin1EEEvN5torch10headeronly6detail27GenericPackedTensorAccessorINS5_14TensorAccessorIN3c108ArrayRefIlEEKT_Lm4ENS4_16DefaultPtrTraitsEiEENS_6detail16IndexBoundsCheckILm5EiEESC_Lm5ESD_iEENS6_INS7_ISA_SB_Lm4ESD_iEESH_SB_Lm5ESD_iEESI_iiiiiiiii ; -- Begin function _ZN2at6native12_GLOBAL__N_143conv_depthwise3d_cuda_backward_input_kernelIffLin1ELin1ELin1ELin1ELin1ELin1ELin1ELin1ELin1EEEvN5torch10headeronly6detail27GenericPackedTensorAccessorINS5_14TensorAccessorIN3c108ArrayRefIlEEKT_Lm4ENS4_16DefaultPtrTraitsEiEENS_6detail16IndexBoundsCheckILm5EiEESC_Lm5ESD_iEENS6_INS7_ISA_SB_Lm4ESD_iEESH_SB_Lm5ESD_iEESI_iiiiiiiii
	.p2align	8
	.type	_ZN2at6native12_GLOBAL__N_143conv_depthwise3d_cuda_backward_input_kernelIffLin1ELin1ELin1ELin1ELin1ELin1ELin1ELin1ELin1EEEvN5torch10headeronly6detail27GenericPackedTensorAccessorINS5_14TensorAccessorIN3c108ArrayRefIlEEKT_Lm4ENS4_16DefaultPtrTraitsEiEENS_6detail16IndexBoundsCheckILm5EiEESC_Lm5ESD_iEENS6_INS7_ISA_SB_Lm4ESD_iEESH_SB_Lm5ESD_iEESI_iiiiiiiii,@function
_ZN2at6native12_GLOBAL__N_143conv_depthwise3d_cuda_backward_input_kernelIffLin1ELin1ELin1ELin1ELin1ELin1ELin1ELin1ELin1EEEvN5torch10headeronly6detail27GenericPackedTensorAccessorINS5_14TensorAccessorIN3c108ArrayRefIlEEKT_Lm4ENS4_16DefaultPtrTraitsEiEENS_6detail16IndexBoundsCheckILm5EiEESC_Lm5ESD_iEENS6_INS7_ISA_SB_Lm4ESD_iEESH_SB_Lm5ESD_iEESI_iiiiiiiii: ; @_ZN2at6native12_GLOBAL__N_143conv_depthwise3d_cuda_backward_input_kernelIffLin1ELin1ELin1ELin1ELin1ELin1ELin1ELin1ELin1EEEvN5torch10headeronly6detail27GenericPackedTensorAccessorINS5_14TensorAccessorIN3c108ArrayRefIlEEKT_Lm4ENS4_16DefaultPtrTraitsEiEENS_6detail16IndexBoundsCheckILm5EiEESC_Lm5ESD_iEENS6_INS7_ISA_SB_Lm4ESD_iEESH_SB_Lm5ESD_iEESI_iiiiiiiii
; %bb.0:
	s_clause 0x2
	s_load_b128 s[16:19], s[0:1], 0x38
	s_load_b32 s4, s[0:1], 0xc4
	s_load_b64 s[6:7], s[0:1], 0x48
	s_mov_b32 s8, exec_lo
	s_waitcnt lgkmcnt(0)
	s_abs_i32 s33, s17
	s_add_u32 s2, s0, 0xb8
	v_cvt_f32_u32_e32 v1, s33
	s_addc_u32 s3, s1, 0
	s_and_b32 s4, s4, 0xffff
	s_mul_i32 s34, s7, s16
	s_delay_alu instid0(SALU_CYCLE_1) | instskip(SKIP_3) | instid1(VALU_DEP_1)
	s_ashr_i32 s35, s34, 31
	v_rcp_iflag_f32_e32 v2, v1
	s_waitcnt_depctr 0xfff
	v_dual_mov_b32 v1, 0 :: v_dual_mul_f32 v4, 0x4f7ffffe, v2
	v_mad_u64_u32 v[2:3], null, s4, s15, v[0:1]
	s_delay_alu instid0(VALU_DEP_2) | instskip(NEXT) | instid1(VALU_DEP_1)
	v_cvt_u32_f32_e32 v0, v4
	v_readfirstlane_b32 s5, v0
	s_delay_alu instid0(VALU_DEP_3)
	v_cmpx_gt_i64_e64 s[34:35], v[2:3]
	s_cbranch_execz .LBB21_18
; %bb.1:
	s_clause 0x1
	s_load_b128 s[20:23], s[0:1], 0xc
	s_load_b64 s[36:37], s[0:1], 0x0
	s_sub_i32 s28, 0, s33
	s_ashr_i32 s16, s17, 31
	s_mul_i32 s24, s28, s5
	s_load_b256 s[8:15], s[0:1], 0x90
	s_mul_hi_u32 s24, s5, s24
	s_load_b32 s2, s[2:3], 0x0
	s_add_i32 s5, s5, s24
	s_load_b128 s[24:27], s[0:1], 0x70
	v_mul_lo_u32 v1, s28, v0
	s_clause 0x1
	s_load_b64 s[38:39], s[0:1], 0x1c
	s_load_b64 s[40:41], s[0:1], 0x30
	s_mov_b32 s44, 0
	s_delay_alu instid0(VALU_DEP_1)
	v_mul_hi_u32 v1, v0, v1
	s_waitcnt lgkmcnt(0)
	s_abs_i32 s29, s20
	s_ashr_i32 s20, s20, 31
	s_mul_hi_u32 s5, s29, s5
	s_xor_b32 s30, s20, s16
	s_mul_i32 s27, s5, s33
	s_load_b32 s20, s[0:1], 0xb0
	s_sub_i32 s27, s29, s27
	s_add_i32 s29, s5, 1
	s_sub_i32 s31, s27, s33
	s_cmp_ge_u32 s27, s33
	s_cselect_b32 s5, s29, s5
	s_cselect_b32 s27, s31, s27
	s_add_i32 s29, s5, 1
	s_cmp_ge_u32 s27, s33
	s_load_b32 s27, s[0:1], 0x7c
	s_cselect_b32 s3, s29, s5
	s_delay_alu instid0(SALU_CYCLE_1) | instskip(NEXT) | instid1(SALU_CYCLE_1)
	s_xor_b32 s3, s3, s30
	s_sub_i32 s45, s3, s30
	s_cmp_gt_i32 s24, 0
	s_clause 0x1
	s_load_b64 s[42:43], s[0:1], 0x60
	s_load_b128 s[28:31], s[0:1], 0x50
	s_cselect_b32 s46, -1, 0
	s_cmp_gt_i32 s25, 0
	s_cselect_b32 s47, -1, 0
	s_cmp_gt_i32 s26, 0
	s_cselect_b32 s48, -1, 0
	s_abs_i32 s49, s6
	s_abs_i32 s50, s19
	v_cvt_f32_u32_e32 v4, s49
	v_cvt_f32_u32_e32 v5, s50
	s_abs_i32 s51, s18
	s_abs_i32 s52, s8
	;; [unrolled: 1-line block ×3, first 2 shown]
	v_rcp_iflag_f32_e32 v4, v4
	s_abs_i32 s54, s10
	v_cvt_f32_u32_e32 v6, s51
	v_cvt_f32_u32_e32 v7, s52
	;; [unrolled: 1-line block ×4, first 2 shown]
	v_rcp_iflag_f32_e32 v5, v5
	v_rcp_iflag_f32_e32 v6, v6
	;; [unrolled: 1-line block ×5, first 2 shown]
	v_mul_f32_e32 v4, 0x4f7ffffe, v4
	s_sub_i32 s0, 0, s49
	s_sub_i32 s1, 0, s50
	;; [unrolled: 1-line block ×4, first 2 shown]
	v_mul_f32_e32 v5, 0x4f7ffffe, v5
	v_cvt_u32_f32_e32 v4, v4
	v_dual_mul_f32 v6, 0x4f7ffffe, v6 :: v_dual_mul_f32 v7, 0x4f7ffffe, v7
	s_waitcnt_depctr 0xfff
	v_dual_mul_f32 v8, 0x4f7ffffe, v8 :: v_dual_mul_f32 v9, 0x4f7ffffe, v9
	v_mul_lo_u32 v10, s0, v4
	v_cvt_u32_f32_e32 v5, v5
	v_cvt_u32_f32_e32 v6, v6
	;; [unrolled: 1-line block ×5, first 2 shown]
	s_sub_i32 s55, 0, s53
	s_sub_i32 s56, 0, s54
	v_mul_lo_u32 v7, s1, v5
	v_mul_lo_u32 v8, s3, v6
	;; [unrolled: 1-line block ×4, first 2 shown]
	v_mul_hi_u32 v10, v4, v10
	v_mul_lo_u32 v15, s56, v13
	s_mul_i32 s55, s2, s4
	s_ashr_i32 s56, s6, 31
	v_mul_hi_u32 v7, v5, v7
	v_mul_hi_u32 v8, v6, v8
	;; [unrolled: 1-line block ×4, first 2 shown]
	v_add_nc_u32_e32 v4, v4, v10
	v_mul_hi_u32 v10, v13, v15
	s_ashr_i32 s57, s19, 31
	s_ashr_i32 s58, s18, 31
	v_add_nc_u32_e32 v5, v5, v7
	v_add_nc_u32_e32 v6, v6, v8
	;; [unrolled: 1-line block ×6, first 2 shown]
	s_ashr_i32 s59, s8, 31
	s_ashr_i32 s60, s9, 31
	s_ashr_i32 s61, s10, 31
	s_branch .LBB21_4
.LBB21_2:                               ;   in Loop: Header=BB21_4 Depth=1
	s_or_b32 exec_lo, exec_lo, s63
.LBB21_3:                               ;   in Loop: Header=BB21_4 Depth=1
	s_delay_alu instid0(SALU_CYCLE_1)
	s_or_b32 exec_lo, exec_lo, s62
	v_mul_lo_u32 v0, v16, s7
	s_waitcnt lgkmcnt(0)
	v_mul_lo_u32 v14, s28, v14
	v_mul_lo_u32 v16, s29, v15
	;; [unrolled: 1-line block ×3, first 2 shown]
	v_add_co_u32 v2, vcc_lo, v2, s55
	v_add_co_ci_u32_e32 v3, vcc_lo, 0, v3, vcc_lo
	v_ashrrev_i32_e32 v1, 31, v0
	v_ashrrev_i32_e32 v15, 31, v14
	;; [unrolled: 1-line block ×3, first 2 shown]
	v_mul_lo_u32 v12, s31, v12
	v_ashrrev_i32_e32 v19, 31, v18
	v_lshlrev_b64 v[0:1], 2, v[0:1]
	v_lshlrev_b64 v[14:15], 2, v[14:15]
	s_delay_alu instid0(VALU_DEP_4) | instskip(NEXT) | instid1(VALU_DEP_3)
	v_ashrrev_i32_e32 v13, 31, v12
	v_add_co_u32 v20, vcc_lo, s40, v0
	s_delay_alu instid0(VALU_DEP_4) | instskip(SKIP_1) | instid1(VALU_DEP_3)
	v_add_co_ci_u32_e32 v21, vcc_lo, s41, v1, vcc_lo
	v_lshlrev_b64 v[0:1], 2, v[16:17]
	v_add_co_u32 v16, vcc_lo, v20, v14
	s_delay_alu instid0(VALU_DEP_3) | instskip(SKIP_1) | instid1(VALU_DEP_3)
	v_add_co_ci_u32_e32 v17, vcc_lo, v21, v15, vcc_lo
	v_lshlrev_b64 v[14:15], 2, v[18:19]
	v_add_co_u32 v16, vcc_lo, v16, v0
	s_delay_alu instid0(VALU_DEP_3) | instskip(SKIP_1) | instid1(VALU_DEP_3)
	;; [unrolled: 4-line block ×3, first 2 shown]
	v_add_co_ci_u32_e32 v13, vcc_lo, v17, v15, vcc_lo
	v_cmp_le_i64_e32 vcc_lo, s[34:35], v[2:3]
	v_add_co_u32 v0, s0, v12, v0
	s_delay_alu instid0(VALU_DEP_1)
	v_add_co_ci_u32_e64 v1, s0, v13, v1, s0
	s_or_b32 s44, vcc_lo, s44
	global_store_b32 v[0:1], v11, off
	s_and_not1_b32 exec_lo, exec_lo, s44
	s_cbranch_execz .LBB21_18
.LBB21_4:                               ; =>This Loop Header: Depth=1
                                        ;     Child Loop BB21_7 Depth 2
                                        ;       Child Loop BB21_10 Depth 3
                                        ;         Child Loop BB21_13 Depth 4
                                        ;           Child Loop BB21_16 Depth 5
	v_sub_nc_u32_e32 v0, 0, v2
	s_mov_b32 s62, exec_lo
	s_delay_alu instid0(VALU_DEP_1) | instskip(NEXT) | instid1(VALU_DEP_1)
	v_max_i32_e32 v0, v2, v0
	v_mul_hi_u32 v1, v0, v4
	s_delay_alu instid0(VALU_DEP_1) | instskip(NEXT) | instid1(VALU_DEP_1)
	v_mul_lo_u32 v11, v1, s49
	v_sub_nc_u32_e32 v0, v0, v11
	s_delay_alu instid0(VALU_DEP_1) | instskip(SKIP_1) | instid1(VALU_DEP_2)
	v_subrev_nc_u32_e32 v12, s49, v0
	v_cmp_le_u32_e32 vcc_lo, s49, v0
	v_dual_cndmask_b32 v0, v0, v12 :: v_dual_add_nc_u32 v11, 1, v1
	s_delay_alu instid0(VALU_DEP_1) | instskip(SKIP_1) | instid1(VALU_DEP_3)
	v_cndmask_b32_e32 v1, v1, v11, vcc_lo
	v_ashrrev_i32_e32 v11, 31, v2
	v_cmp_le_u32_e32 vcc_lo, s49, v0
	s_delay_alu instid0(VALU_DEP_3) | instskip(NEXT) | instid1(VALU_DEP_3)
	v_add_nc_u32_e32 v12, 1, v1
	v_xor_b32_e32 v11, s56, v11
	s_delay_alu instid0(VALU_DEP_2) | instskip(NEXT) | instid1(VALU_DEP_1)
	v_cndmask_b32_e32 v0, v1, v12, vcc_lo
	v_xor_b32_e32 v0, v0, v11
	s_delay_alu instid0(VALU_DEP_1) | instskip(NEXT) | instid1(VALU_DEP_1)
	v_sub_nc_u32_e32 v0, v0, v11
	v_sub_nc_u32_e32 v1, 0, v0
	s_delay_alu instid0(VALU_DEP_1) | instskip(NEXT) | instid1(VALU_DEP_1)
	v_max_i32_e32 v1, v0, v1
	v_mul_hi_u32 v11, v1, v5
	s_delay_alu instid0(VALU_DEP_1) | instskip(NEXT) | instid1(VALU_DEP_1)
	v_mul_lo_u32 v12, v11, s50
	v_sub_nc_u32_e32 v1, v1, v12
	s_delay_alu instid0(VALU_DEP_1) | instskip(SKIP_1) | instid1(VALU_DEP_2)
	v_subrev_nc_u32_e32 v13, s50, v1
	v_cmp_le_u32_e32 vcc_lo, s50, v1
	v_dual_cndmask_b32 v1, v1, v13 :: v_dual_add_nc_u32 v12, 1, v11
	s_delay_alu instid0(VALU_DEP_1) | instskip(SKIP_1) | instid1(VALU_DEP_3)
	v_cndmask_b32_e32 v11, v11, v12, vcc_lo
	v_ashrrev_i32_e32 v12, 31, v0
	v_cmp_le_u32_e32 vcc_lo, s50, v1
	s_delay_alu instid0(VALU_DEP_3) | instskip(NEXT) | instid1(VALU_DEP_3)
	v_add_nc_u32_e32 v13, 1, v11
	v_xor_b32_e32 v12, s57, v12
	s_delay_alu instid0(VALU_DEP_2) | instskip(NEXT) | instid1(VALU_DEP_1)
	v_cndmask_b32_e32 v1, v11, v13, vcc_lo
	v_xor_b32_e32 v1, v1, v12
	s_delay_alu instid0(VALU_DEP_1) | instskip(NEXT) | instid1(VALU_DEP_1)
	v_sub_nc_u32_e32 v1, v1, v12
	v_sub_nc_u32_e32 v11, 0, v1
	s_delay_alu instid0(VALU_DEP_1) | instskip(NEXT) | instid1(VALU_DEP_1)
	v_max_i32_e32 v11, v1, v11
	v_mul_hi_u32 v12, v11, v6
	s_delay_alu instid0(VALU_DEP_1) | instskip(NEXT) | instid1(VALU_DEP_1)
	v_mul_lo_u32 v13, v12, s51
	v_sub_nc_u32_e32 v11, v11, v13
	v_add_nc_u32_e32 v13, 1, v12
	s_delay_alu instid0(VALU_DEP_2) | instskip(SKIP_1) | instid1(VALU_DEP_2)
	v_subrev_nc_u32_e32 v14, s51, v11
	v_cmp_le_u32_e32 vcc_lo, s51, v11
	v_dual_cndmask_b32 v12, v12, v13 :: v_dual_cndmask_b32 v11, v11, v14
	v_ashrrev_i32_e32 v13, 31, v1
	s_delay_alu instid0(VALU_DEP_2) | instskip(NEXT) | instid1(VALU_DEP_3)
	v_add_nc_u32_e32 v14, 1, v12
	v_cmp_le_u32_e32 vcc_lo, s51, v11
	s_delay_alu instid0(VALU_DEP_3) | instskip(NEXT) | instid1(VALU_DEP_3)
	v_xor_b32_e32 v13, s58, v13
	v_cndmask_b32_e32 v11, v12, v14, vcc_lo
	s_delay_alu instid0(VALU_DEP_1) | instskip(NEXT) | instid1(VALU_DEP_1)
	v_xor_b32_e32 v11, v11, v13
	v_sub_nc_u32_e32 v11, v11, v13
	s_delay_alu instid0(VALU_DEP_1) | instskip(NEXT) | instid1(VALU_DEP_1)
	v_sub_nc_u32_e32 v12, 0, v11
	v_max_i32_e32 v12, v11, v12
	s_delay_alu instid0(VALU_DEP_1) | instskip(NEXT) | instid1(VALU_DEP_1)
	v_mul_hi_u32 v13, v12, v7
	v_mul_lo_u32 v14, v13, s33
	s_delay_alu instid0(VALU_DEP_1) | instskip(SKIP_1) | instid1(VALU_DEP_2)
	v_sub_nc_u32_e32 v12, v12, v14
	v_add_nc_u32_e32 v14, 1, v13
	v_subrev_nc_u32_e32 v15, s33, v12
	v_cmp_le_u32_e32 vcc_lo, s33, v12
	s_delay_alu instid0(VALU_DEP_2) | instskip(SKIP_1) | instid1(VALU_DEP_2)
	v_dual_cndmask_b32 v13, v13, v14 :: v_dual_cndmask_b32 v12, v12, v15
	v_ashrrev_i32_e32 v14, 31, v11
	v_add_nc_u32_e32 v15, 1, v13
	s_delay_alu instid0(VALU_DEP_3) | instskip(NEXT) | instid1(VALU_DEP_3)
	v_cmp_le_u32_e32 vcc_lo, s33, v12
	v_xor_b32_e32 v14, s16, v14
	s_delay_alu instid0(VALU_DEP_3) | instskip(SKIP_1) | instid1(VALU_DEP_2)
	v_cndmask_b32_e32 v12, v13, v15, vcc_lo
	v_mul_lo_u32 v13, v1, s19
	v_xor_b32_e32 v12, v12, v14
	s_delay_alu instid0(VALU_DEP_2) | instskip(NEXT) | instid1(VALU_DEP_2)
	v_sub_nc_u32_e32 v13, v0, v13
	v_sub_nc_u32_e32 v16, v12, v14
	s_delay_alu instid0(VALU_DEP_1) | instskip(NEXT) | instid1(VALU_DEP_1)
	v_mul_lo_u32 v12, v16, s17
	v_sub_nc_u32_e32 v14, v11, v12
	v_mul_lo_u32 v12, v0, s6
	v_mul_lo_u32 v11, v11, s18
	s_delay_alu instid0(VALU_DEP_3) | instskip(NEXT) | instid1(VALU_DEP_3)
	v_mul_lo_u32 v17, v14, s45
	v_sub_nc_u32_e32 v12, v2, v12
	s_delay_alu instid0(VALU_DEP_3) | instskip(NEXT) | instid1(VALU_DEP_3)
	v_sub_nc_u32_e32 v15, v1, v11
	v_dual_mov_b32 v11, 0 :: v_dual_add_nc_u32 v18, s45, v17
	s_delay_alu instid0(VALU_DEP_1)
	v_cmpx_lt_i32_e64 v17, v18
	s_cbranch_execz .LBB21_3
; %bb.5:                                ;   in Loop: Header=BB21_4 Depth=1
	s_waitcnt lgkmcnt(0)
	v_mul_lo_u32 v0, s27, v17
	v_mul_lo_u32 v22, s38, v16
	v_add_nc_u32_e32 v19, s13, v12
	v_dual_mov_b32 v11, 0 :: v_dual_add_nc_u32 v20, s12, v13
	v_add_nc_u32_e32 v21, s11, v15
	s_mov_b32 s63, 0
	v_ashrrev_i32_e32 v1, 31, v0
	v_ashrrev_i32_e32 v23, 31, v22
	s_delay_alu instid0(VALU_DEP_2) | instskip(NEXT) | instid1(VALU_DEP_2)
	v_lshlrev_b64 v[0:1], 2, v[0:1]
	v_lshlrev_b64 v[22:23], 2, v[22:23]
	s_delay_alu instid0(VALU_DEP_2) | instskip(NEXT) | instid1(VALU_DEP_3)
	v_add_co_u32 v0, vcc_lo, s42, v0
	v_add_co_ci_u32_e32 v1, vcc_lo, s43, v1, vcc_lo
	s_delay_alu instid0(VALU_DEP_3) | instskip(NEXT) | instid1(VALU_DEP_4)
	v_add_co_u32 v22, vcc_lo, s36, v22
	v_add_co_ci_u32_e32 v23, vcc_lo, s37, v23, vcc_lo
	s_branch .LBB21_7
.LBB21_6:                               ;   in Loop: Header=BB21_7 Depth=2
	v_add_nc_u32_e32 v17, 1, v17
	s_delay_alu instid0(VALU_DEP_1) | instskip(SKIP_1) | instid1(SALU_CYCLE_1)
	v_cmp_eq_u32_e32 vcc_lo, v17, v18
	s_or_b32 s63, vcc_lo, s63
	s_and_not1_b32 exec_lo, exec_lo, s63
	s_cbranch_execz .LBB21_2
.LBB21_7:                               ;   Parent Loop BB21_4 Depth=1
                                        ; =>  This Loop Header: Depth=2
                                        ;       Child Loop BB21_10 Depth 3
                                        ;         Child Loop BB21_13 Depth 4
                                        ;           Child Loop BB21_16 Depth 5
	s_and_not1_b32 vcc_lo, exec_lo, s46
	s_cbranch_vccnz .LBB21_6
; %bb.8:                                ;   in Loop: Header=BB21_7 Depth=2
	v_mul_lo_u32 v24, s39, v17
	s_mov_b32 s64, 0
	s_delay_alu instid0(VALU_DEP_1) | instskip(NEXT) | instid1(VALU_DEP_1)
	v_ashrrev_i32_e32 v25, 31, v24
	v_lshlrev_b64 v[24:25], 2, v[24:25]
	s_delay_alu instid0(VALU_DEP_1) | instskip(NEXT) | instid1(VALU_DEP_2)
	v_add_co_u32 v24, vcc_lo, v22, v24
	v_add_co_ci_u32_e32 v25, vcc_lo, v23, v25, vcc_lo
	s_branch .LBB21_10
.LBB21_9:                               ;   in Loop: Header=BB21_10 Depth=3
	s_add_i32 s64, s64, 1
	s_delay_alu instid0(SALU_CYCLE_1)
	s_cmp_eq_u32 s64, s24
	s_cbranch_scc1 .LBB21_6
.LBB21_10:                              ;   Parent Loop BB21_4 Depth=1
                                        ;     Parent Loop BB21_7 Depth=2
                                        ; =>    This Loop Header: Depth=3
                                        ;         Child Loop BB21_13 Depth 4
                                        ;           Child Loop BB21_16 Depth 5
	s_and_not1_b32 vcc_lo, exec_lo, s47
	s_cbranch_vccnz .LBB21_9
; %bb.11:                               ;   in Loop: Header=BB21_10 Depth=3
	s_mul_i32 s0, s64, s14
	s_mov_b32 s65, 0
	v_subrev_nc_u32_e32 v27, s0, v21
	s_delay_alu instid0(VALU_DEP_1) | instskip(NEXT) | instid1(VALU_DEP_1)
	v_sub_nc_u32_e32 v26, 0, v27
	v_max_i32_e32 v26, v27, v26
	s_delay_alu instid0(VALU_DEP_1) | instskip(NEXT) | instid1(VALU_DEP_1)
	v_mul_hi_u32 v28, v26, v8
	v_mul_lo_u32 v29, v28, s52
	s_delay_alu instid0(VALU_DEP_1) | instskip(NEXT) | instid1(VALU_DEP_1)
	v_sub_nc_u32_e32 v26, v26, v29
	v_subrev_nc_u32_e32 v30, s52, v26
	v_cmp_le_u32_e32 vcc_lo, s52, v26
	s_delay_alu instid0(VALU_DEP_2) | instskip(NEXT) | instid1(VALU_DEP_1)
	v_dual_cndmask_b32 v26, v26, v30 :: v_dual_add_nc_u32 v29, 1, v28
	v_cndmask_b32_e32 v28, v28, v29, vcc_lo
	v_ashrrev_i32_e32 v29, 31, v27
	s_delay_alu instid0(VALU_DEP_3) | instskip(NEXT) | instid1(VALU_DEP_3)
	v_cmp_le_u32_e32 vcc_lo, s52, v26
	v_add_nc_u32_e32 v30, 1, v28
	s_delay_alu instid0(VALU_DEP_3) | instskip(NEXT) | instid1(VALU_DEP_2)
	v_xor_b32_e32 v29, s59, v29
	v_cndmask_b32_e32 v26, v28, v30, vcc_lo
	s_delay_alu instid0(VALU_DEP_1) | instskip(NEXT) | instid1(VALU_DEP_1)
	v_xor_b32_e32 v26, v26, v29
	v_sub_nc_u32_e32 v28, v26, v29
	s_delay_alu instid0(VALU_DEP_1) | instskip(SKIP_3) | instid1(VALU_DEP_4)
	v_mul_lo_u32 v29, v28, s8
	v_mul_lo_u32 v26, v28, s22
	v_cmp_lt_i32_e64 s0, -1, v28
	v_cmp_gt_i32_e64 s1, s21, v28
	v_cmp_eq_u32_e64 s2, v29, v27
	s_branch .LBB21_13
.LBB21_12:                              ;   in Loop: Header=BB21_13 Depth=4
	s_add_i32 s65, s65, 1
	s_delay_alu instid0(SALU_CYCLE_1)
	s_cmp_eq_u32 s65, s25
	s_cbranch_scc1 .LBB21_9
.LBB21_13:                              ;   Parent Loop BB21_4 Depth=1
                                        ;     Parent Loop BB21_7 Depth=2
                                        ;       Parent Loop BB21_10 Depth=3
                                        ; =>      This Loop Header: Depth=4
                                        ;           Child Loop BB21_16 Depth 5
	s_and_not1_b32 vcc_lo, exec_lo, s48
	s_cbranch_vccnz .LBB21_12
; %bb.14:                               ;   in Loop: Header=BB21_13 Depth=4
	s_mul_i32 s3, s65, s15
	s_mov_b32 s67, s26
	v_subrev_nc_u32_e32 v28, s3, v20
	s_delay_alu instid0(VALU_DEP_1) | instskip(NEXT) | instid1(VALU_DEP_1)
	v_sub_nc_u32_e32 v27, 0, v28
	v_max_i32_e32 v27, v28, v27
	s_delay_alu instid0(VALU_DEP_1) | instskip(NEXT) | instid1(VALU_DEP_1)
	v_mul_hi_u32 v29, v27, v9
	v_mul_lo_u32 v30, v29, s53
	s_delay_alu instid0(VALU_DEP_1) | instskip(NEXT) | instid1(VALU_DEP_1)
	v_sub_nc_u32_e32 v27, v27, v30
	v_subrev_nc_u32_e32 v31, s53, v27
	v_cmp_le_u32_e32 vcc_lo, s53, v27
	s_delay_alu instid0(VALU_DEP_2) | instskip(NEXT) | instid1(VALU_DEP_1)
	v_dual_cndmask_b32 v27, v27, v31 :: v_dual_add_nc_u32 v30, 1, v29
	v_cndmask_b32_e32 v29, v29, v30, vcc_lo
	v_ashrrev_i32_e32 v30, 31, v28
	s_delay_alu instid0(VALU_DEP_3) | instskip(NEXT) | instid1(VALU_DEP_3)
	v_cmp_le_u32_e32 vcc_lo, s53, v27
	v_add_nc_u32_e32 v31, 1, v29
	s_delay_alu instid0(VALU_DEP_3) | instskip(NEXT) | instid1(VALU_DEP_2)
	v_xor_b32_e32 v30, s60, v30
	v_cndmask_b32_e32 v27, v29, v31, vcc_lo
	s_delay_alu instid0(VALU_DEP_1) | instskip(NEXT) | instid1(VALU_DEP_1)
	v_xor_b32_e32 v27, v27, v30
	v_sub_nc_u32_e32 v29, v27, v30
	s_delay_alu instid0(VALU_DEP_1) | instskip(SKIP_3) | instid1(VALU_DEP_3)
	v_mul_lo_u32 v30, v29, s9
	v_add_nc_u32_e32 v27, v29, v26
	v_cmp_lt_i32_e32 vcc_lo, -1, v29
	v_cmp_gt_i32_e64 s3, s22, v29
	v_mul_lo_u32 v27, v27, s23
	v_cmp_eq_u32_e64 s4, v30, v28
	v_mov_b32_e32 v28, v19
	s_delay_alu instid0(VALU_DEP_2)
	s_and_b32 s66, s2, s4
	s_branch .LBB21_16
.LBB21_15:                              ;   in Loop: Header=BB21_16 Depth=5
	s_or_b32 exec_lo, exec_lo, s5
	v_mul_lo_u32 v30, v30, s10
	s_waitcnt vmcnt(0)
	v_fma_f32 v29, v29, v31, v11
	v_add_co_u32 v0, s5, v0, 4
	s_delay_alu instid0(VALU_DEP_1) | instskip(SKIP_1) | instid1(VALU_DEP_4)
	v_add_co_ci_u32_e64 v1, s5, 0, v1, s5
	s_add_i32 s67, s67, -1
	v_cmp_eq_u32_e64 s4, v28, v30
	v_subrev_nc_u32_e32 v28, s20, v28
	s_delay_alu instid0(VALU_DEP_2)
	s_and_b32 s4, s66, s4
	s_cmp_eq_u32 s67, 0
	v_cndmask_b32_e64 v11, v11, v29, s4
	s_cbranch_scc1 .LBB21_12
.LBB21_16:                              ;   Parent Loop BB21_4 Depth=1
                                        ;     Parent Loop BB21_7 Depth=2
                                        ;       Parent Loop BB21_10 Depth=3
                                        ;         Parent Loop BB21_13 Depth=4
                                        ; =>        This Inner Loop Header: Depth=5
	global_load_b32 v29, v[0:1], off
	v_sub_nc_u32_e32 v30, 0, v28
	s_delay_alu instid0(VALU_DEP_1) | instskip(NEXT) | instid1(VALU_DEP_1)
	v_max_i32_e32 v30, v28, v30
	v_mul_hi_u32 v31, v30, v10
	s_delay_alu instid0(VALU_DEP_1) | instskip(NEXT) | instid1(VALU_DEP_1)
	v_mul_lo_u32 v32, v31, s54
	v_sub_nc_u32_e32 v30, v30, v32
	v_add_nc_u32_e32 v32, 1, v31
	s_delay_alu instid0(VALU_DEP_2) | instskip(SKIP_1) | instid1(VALU_DEP_1)
	v_subrev_nc_u32_e32 v33, s54, v30
	v_cmp_le_u32_e64 s4, s54, v30
	v_cndmask_b32_e64 v31, v31, v32, s4
	s_delay_alu instid0(VALU_DEP_3) | instskip(SKIP_1) | instid1(VALU_DEP_3)
	v_cndmask_b32_e64 v30, v30, v33, s4
	v_ashrrev_i32_e32 v32, 31, v28
	v_add_nc_u32_e32 v33, 1, v31
	s_delay_alu instid0(VALU_DEP_3) | instskip(NEXT) | instid1(VALU_DEP_3)
	v_cmp_le_u32_e64 s4, s54, v30
	v_xor_b32_e32 v32, s61, v32
	s_delay_alu instid0(VALU_DEP_2) | instskip(SKIP_1) | instid1(VALU_DEP_2)
	v_cndmask_b32_e64 v30, v31, v33, s4
	v_mov_b32_e32 v31, 0
	v_xor_b32_e32 v30, v30, v32
	s_delay_alu instid0(VALU_DEP_1) | instskip(NEXT) | instid1(VALU_DEP_1)
	v_sub_nc_u32_e32 v30, v30, v32
	v_cmp_lt_i32_e64 s4, -1, v30
	v_cmp_gt_i32_e64 s5, s23, v30
	s_delay_alu instid0(VALU_DEP_2) | instskip(NEXT) | instid1(SALU_CYCLE_1)
	s_and_b32 s4, s4, vcc_lo
	s_and_b32 s4, s4, s0
	s_delay_alu instid0(VALU_DEP_1) | instid1(SALU_CYCLE_1)
	s_and_b32 s4, s5, s4
	s_delay_alu instid0(SALU_CYCLE_1) | instskip(NEXT) | instid1(SALU_CYCLE_1)
	s_and_b32 s4, s4, s3
	s_and_b32 s4, s4, s1
	s_delay_alu instid0(SALU_CYCLE_1)
	s_and_saveexec_b32 s5, s4
	s_cbranch_execz .LBB21_15
; %bb.17:                               ;   in Loop: Header=BB21_16 Depth=5
	v_add_nc_u32_e32 v31, v30, v27
	s_delay_alu instid0(VALU_DEP_1) | instskip(NEXT) | instid1(VALU_DEP_1)
	v_ashrrev_i32_e32 v32, 31, v31
	v_lshlrev_b64 v[31:32], 2, v[31:32]
	s_delay_alu instid0(VALU_DEP_1) | instskip(NEXT) | instid1(VALU_DEP_1)
	v_add_co_u32 v31, s4, v24, v31
	v_add_co_ci_u32_e64 v32, s4, v25, v32, s4
	global_load_b32 v31, v[31:32], off
	s_branch .LBB21_15
.LBB21_18:
	s_nop 0
	s_sendmsg sendmsg(MSG_DEALLOC_VGPRS)
	s_endpgm
	.section	.rodata,"a",@progbits
	.p2align	6, 0x0
	.amdhsa_kernel _ZN2at6native12_GLOBAL__N_143conv_depthwise3d_cuda_backward_input_kernelIffLin1ELin1ELin1ELin1ELin1ELin1ELin1ELin1ELin1EEEvN5torch10headeronly6detail27GenericPackedTensorAccessorINS5_14TensorAccessorIN3c108ArrayRefIlEEKT_Lm4ENS4_16DefaultPtrTraitsEiEENS_6detail16IndexBoundsCheckILm5EiEESC_Lm5ESD_iEENS6_INS7_ISA_SB_Lm4ESD_iEESH_SB_Lm5ESD_iEESI_iiiiiiiii
		.amdhsa_group_segment_fixed_size 0
		.amdhsa_private_segment_fixed_size 0
		.amdhsa_kernarg_size 440
		.amdhsa_user_sgpr_count 15
		.amdhsa_user_sgpr_dispatch_ptr 0
		.amdhsa_user_sgpr_queue_ptr 0
		.amdhsa_user_sgpr_kernarg_segment_ptr 1
		.amdhsa_user_sgpr_dispatch_id 0
		.amdhsa_user_sgpr_private_segment_size 0
		.amdhsa_wavefront_size32 1
		.amdhsa_uses_dynamic_stack 0
		.amdhsa_enable_private_segment 0
		.amdhsa_system_sgpr_workgroup_id_x 1
		.amdhsa_system_sgpr_workgroup_id_y 0
		.amdhsa_system_sgpr_workgroup_id_z 0
		.amdhsa_system_sgpr_workgroup_info 0
		.amdhsa_system_vgpr_workitem_id 0
		.amdhsa_next_free_vgpr 34
		.amdhsa_next_free_sgpr 68
		.amdhsa_reserve_vcc 1
		.amdhsa_float_round_mode_32 0
		.amdhsa_float_round_mode_16_64 0
		.amdhsa_float_denorm_mode_32 3
		.amdhsa_float_denorm_mode_16_64 3
		.amdhsa_dx10_clamp 1
		.amdhsa_ieee_mode 1
		.amdhsa_fp16_overflow 0
		.amdhsa_workgroup_processor_mode 1
		.amdhsa_memory_ordered 1
		.amdhsa_forward_progress 0
		.amdhsa_shared_vgpr_count 0
		.amdhsa_exception_fp_ieee_invalid_op 0
		.amdhsa_exception_fp_denorm_src 0
		.amdhsa_exception_fp_ieee_div_zero 0
		.amdhsa_exception_fp_ieee_overflow 0
		.amdhsa_exception_fp_ieee_underflow 0
		.amdhsa_exception_fp_ieee_inexact 0
		.amdhsa_exception_int_div_zero 0
	.end_amdhsa_kernel
	.section	.text._ZN2at6native12_GLOBAL__N_143conv_depthwise3d_cuda_backward_input_kernelIffLin1ELin1ELin1ELin1ELin1ELin1ELin1ELin1ELin1EEEvN5torch10headeronly6detail27GenericPackedTensorAccessorINS5_14TensorAccessorIN3c108ArrayRefIlEEKT_Lm4ENS4_16DefaultPtrTraitsEiEENS_6detail16IndexBoundsCheckILm5EiEESC_Lm5ESD_iEENS6_INS7_ISA_SB_Lm4ESD_iEESH_SB_Lm5ESD_iEESI_iiiiiiiii,"axG",@progbits,_ZN2at6native12_GLOBAL__N_143conv_depthwise3d_cuda_backward_input_kernelIffLin1ELin1ELin1ELin1ELin1ELin1ELin1ELin1ELin1EEEvN5torch10headeronly6detail27GenericPackedTensorAccessorINS5_14TensorAccessorIN3c108ArrayRefIlEEKT_Lm4ENS4_16DefaultPtrTraitsEiEENS_6detail16IndexBoundsCheckILm5EiEESC_Lm5ESD_iEENS6_INS7_ISA_SB_Lm4ESD_iEESH_SB_Lm5ESD_iEESI_iiiiiiiii,comdat
.Lfunc_end21:
	.size	_ZN2at6native12_GLOBAL__N_143conv_depthwise3d_cuda_backward_input_kernelIffLin1ELin1ELin1ELin1ELin1ELin1ELin1ELin1ELin1EEEvN5torch10headeronly6detail27GenericPackedTensorAccessorINS5_14TensorAccessorIN3c108ArrayRefIlEEKT_Lm4ENS4_16DefaultPtrTraitsEiEENS_6detail16IndexBoundsCheckILm5EiEESC_Lm5ESD_iEENS6_INS7_ISA_SB_Lm4ESD_iEESH_SB_Lm5ESD_iEESI_iiiiiiiii, .Lfunc_end21-_ZN2at6native12_GLOBAL__N_143conv_depthwise3d_cuda_backward_input_kernelIffLin1ELin1ELin1ELin1ELin1ELin1ELin1ELin1ELin1EEEvN5torch10headeronly6detail27GenericPackedTensorAccessorINS5_14TensorAccessorIN3c108ArrayRefIlEEKT_Lm4ENS4_16DefaultPtrTraitsEiEENS_6detail16IndexBoundsCheckILm5EiEESC_Lm5ESD_iEENS6_INS7_ISA_SB_Lm4ESD_iEESH_SB_Lm5ESD_iEESI_iiiiiiiii
                                        ; -- End function
	.section	.AMDGPU.csdata,"",@progbits
; Kernel info:
; codeLenInByte = 2356
; NumSgprs: 70
; NumVgprs: 34
; ScratchSize: 0
; MemoryBound: 0
; FloatMode: 240
; IeeeMode: 1
; LDSByteSize: 0 bytes/workgroup (compile time only)
; SGPRBlocks: 8
; VGPRBlocks: 4
; NumSGPRsForWavesPerEU: 70
; NumVGPRsForWavesPerEU: 34
; Occupancy: 16
; WaveLimiterHint : 0
; COMPUTE_PGM_RSRC2:SCRATCH_EN: 0
; COMPUTE_PGM_RSRC2:USER_SGPR: 15
; COMPUTE_PGM_RSRC2:TRAP_HANDLER: 0
; COMPUTE_PGM_RSRC2:TGID_X_EN: 1
; COMPUTE_PGM_RSRC2:TGID_Y_EN: 0
; COMPUTE_PGM_RSRC2:TGID_Z_EN: 0
; COMPUTE_PGM_RSRC2:TIDIG_COMP_CNT: 0
	.section	.text._ZN2at6native12_GLOBAL__N_143conv_depthwise3d_cuda_backward_input_kernelIN3c104HalfEfLi3ELi3ELi3ELi1ELi1ELi1ELi1ELi1ELi1EEEvN5torch10headeronly6detail27GenericPackedTensorAccessorINS7_14TensorAccessorINS3_8ArrayRefIlEEKT_Lm4ENS6_16DefaultPtrTraitsEiEENS_6detail16IndexBoundsCheckILm5EiEESD_Lm5ESE_iEENS8_INS9_ISB_SC_Lm4ESE_iEESI_SC_Lm5ESE_iEESJ_iiiiiiiii,"axG",@progbits,_ZN2at6native12_GLOBAL__N_143conv_depthwise3d_cuda_backward_input_kernelIN3c104HalfEfLi3ELi3ELi3ELi1ELi1ELi1ELi1ELi1ELi1EEEvN5torch10headeronly6detail27GenericPackedTensorAccessorINS7_14TensorAccessorINS3_8ArrayRefIlEEKT_Lm4ENS6_16DefaultPtrTraitsEiEENS_6detail16IndexBoundsCheckILm5EiEESD_Lm5ESE_iEENS8_INS9_ISB_SC_Lm4ESE_iEESI_SC_Lm5ESE_iEESJ_iiiiiiiii,comdat
	.globl	_ZN2at6native12_GLOBAL__N_143conv_depthwise3d_cuda_backward_input_kernelIN3c104HalfEfLi3ELi3ELi3ELi1ELi1ELi1ELi1ELi1ELi1EEEvN5torch10headeronly6detail27GenericPackedTensorAccessorINS7_14TensorAccessorINS3_8ArrayRefIlEEKT_Lm4ENS6_16DefaultPtrTraitsEiEENS_6detail16IndexBoundsCheckILm5EiEESD_Lm5ESE_iEENS8_INS9_ISB_SC_Lm4ESE_iEESI_SC_Lm5ESE_iEESJ_iiiiiiiii ; -- Begin function _ZN2at6native12_GLOBAL__N_143conv_depthwise3d_cuda_backward_input_kernelIN3c104HalfEfLi3ELi3ELi3ELi1ELi1ELi1ELi1ELi1ELi1EEEvN5torch10headeronly6detail27GenericPackedTensorAccessorINS7_14TensorAccessorINS3_8ArrayRefIlEEKT_Lm4ENS6_16DefaultPtrTraitsEiEENS_6detail16IndexBoundsCheckILm5EiEESD_Lm5ESE_iEENS8_INS9_ISB_SC_Lm4ESE_iEESI_SC_Lm5ESE_iEESJ_iiiiiiiii
	.p2align	8
	.type	_ZN2at6native12_GLOBAL__N_143conv_depthwise3d_cuda_backward_input_kernelIN3c104HalfEfLi3ELi3ELi3ELi1ELi1ELi1ELi1ELi1ELi1EEEvN5torch10headeronly6detail27GenericPackedTensorAccessorINS7_14TensorAccessorINS3_8ArrayRefIlEEKT_Lm4ENS6_16DefaultPtrTraitsEiEENS_6detail16IndexBoundsCheckILm5EiEESD_Lm5ESE_iEENS8_INS9_ISB_SC_Lm4ESE_iEESI_SC_Lm5ESE_iEESJ_iiiiiiiii,@function
_ZN2at6native12_GLOBAL__N_143conv_depthwise3d_cuda_backward_input_kernelIN3c104HalfEfLi3ELi3ELi3ELi1ELi1ELi1ELi1ELi1ELi1EEEvN5torch10headeronly6detail27GenericPackedTensorAccessorINS7_14TensorAccessorINS3_8ArrayRefIlEEKT_Lm4ENS6_16DefaultPtrTraitsEiEENS_6detail16IndexBoundsCheckILm5EiEESD_Lm5ESE_iEENS8_INS9_ISB_SC_Lm4ESE_iEESI_SC_Lm5ESE_iEESJ_iiiiiiiii: ; @_ZN2at6native12_GLOBAL__N_143conv_depthwise3d_cuda_backward_input_kernelIN3c104HalfEfLi3ELi3ELi3ELi1ELi1ELi1ELi1ELi1ELi1EEEvN5torch10headeronly6detail27GenericPackedTensorAccessorINS7_14TensorAccessorINS3_8ArrayRefIlEEKT_Lm4ENS6_16DefaultPtrTraitsEiEENS_6detail16IndexBoundsCheckILm5EiEESD_Lm5ESE_iEENS8_INS9_ISB_SC_Lm4ESE_iEESI_SC_Lm5ESE_iEESJ_iiiiiiiii
; %bb.0:
	s_clause 0x2
	s_load_b128 s[8:11], s[0:1], 0x38
	s_load_b32 s4, s[0:1], 0xc4
	s_load_b64 s[24:25], s[0:1], 0x48
	s_mov_b32 s6, exec_lo
	s_waitcnt lgkmcnt(0)
	s_abs_i32 s7, s9
	s_add_u32 s2, s0, 0xb8
	v_cvt_f32_u32_e32 v1, s7
	s_addc_u32 s3, s1, 0
	s_and_b32 s4, s4, 0xffff
	s_mul_i32 s26, s25, s8
	s_delay_alu instid0(SALU_CYCLE_1) | instskip(SKIP_3) | instid1(VALU_DEP_1)
	s_ashr_i32 s27, s26, 31
	v_rcp_iflag_f32_e32 v2, v1
	s_waitcnt_depctr 0xfff
	v_dual_mov_b32 v1, 0 :: v_dual_mul_f32 v4, 0x4f7ffffe, v2
	v_mad_u64_u32 v[2:3], null, s4, s15, v[0:1]
	s_delay_alu instid0(VALU_DEP_2) | instskip(NEXT) | instid1(VALU_DEP_1)
	v_cvt_u32_f32_e32 v0, v4
	v_readfirstlane_b32 s5, v0
	s_delay_alu instid0(VALU_DEP_3)
	v_cmpx_gt_i64_e64 s[26:27], v[2:3]
	s_cbranch_execz .LBB22_60
; %bb.1:
	s_clause 0x1
	s_load_b128 s[12:15], s[0:1], 0xc
	s_load_b64 s[28:29], s[0:1], 0x0
	s_sub_i32 s6, 0, s7
	s_mov_b32 s39, 0
	s_mul_i32 s8, s6, s5
	v_mul_lo_u32 v6, s6, v0
	s_mul_hi_u32 s8, s5, s8
	s_delay_alu instid0(SALU_CYCLE_1) | instskip(SKIP_1) | instid1(VALU_DEP_1)
	s_add_i32 s5, s5, s8
	s_ashr_i32 s8, s9, 31
	v_mul_hi_u32 v6, v0, v6
	s_waitcnt lgkmcnt(0)
	s_abs_i32 s16, s12
	s_ashr_i32 s12, s12, 31
	s_mul_hi_u32 s5, s16, s5
	s_xor_b32 s42, s12, s8
	s_mul_i32 s17, s5, s7
	s_delay_alu instid0(VALU_DEP_1)
	v_add_nc_u32_e32 v63, v0, v6
	s_sub_i32 s12, s16, s17
	s_add_i32 s16, s5, 1
	s_sub_i32 s17, s12, s7
	s_cmp_ge_u32 s12, s7
	s_cselect_b32 s5, s16, s5
	s_cselect_b32 s12, s17, s12
	s_add_i32 s16, s5, 1
	s_cmp_ge_u32 s12, s7
	s_cselect_b32 s5, s16, s5
	s_abs_i32 s12, s24
	s_abs_i32 s33, s11
	v_cvt_f32_u32_e32 v1, s12
	v_cvt_f32_u32_e32 v4, s33
	s_abs_i32 s38, s10
	s_load_b32 s2, s[2:3], 0x0
	s_load_b128 s[16:19], s[0:1], 0x9c
	v_cvt_f32_u32_e32 v5, s38
	v_rcp_iflag_f32_e32 v1, v1
	v_rcp_iflag_f32_e32 v4, v4
	s_sub_i32 s3, 0, s12
	s_sub_i32 s6, 0, s33
	v_rcp_iflag_f32_e32 v5, v5
	s_sub_i32 s20, 0, s38
	s_waitcnt lgkmcnt(0)
	s_clause 0x2
	s_load_b32 s19, s[0:1], 0x7c
	s_load_b64 s[30:31], s[0:1], 0x1c
	s_load_b64 s[34:35], s[0:1], 0x30
	s_ashr_i32 s41, s24, 31
	s_ashr_i32 s43, s11, 31
	;; [unrolled: 1-line block ×3, first 2 shown]
	s_waitcnt_depctr 0xfff
	v_dual_mul_f32 v1, 0x4f7ffffe, v1 :: v_dual_mul_f32 v4, 0x4f7ffffe, v4
	s_delay_alu instid0(VALU_DEP_1) | instskip(NEXT) | instid1(VALU_DEP_2)
	v_cvt_u32_f32_e32 v1, v1
	v_cvt_u32_f32_e32 v4, v4
	s_mul_i32 s40, s2, s4
	s_delay_alu instid0(VALU_DEP_2) | instskip(NEXT) | instid1(VALU_DEP_2)
	v_mul_lo_u32 v7, s3, v1
	v_mul_lo_u32 v8, s6, v4
	s_delay_alu instid0(VALU_DEP_2) | instskip(SKIP_1) | instid1(VALU_DEP_3)
	v_mul_hi_u32 v7, v1, v7
	v_mul_f32_e32 v5, 0x4f7ffffe, v5
	v_mul_hi_u32 v8, v4, v8
	s_delay_alu instid0(VALU_DEP_3) | instskip(NEXT) | instid1(VALU_DEP_3)
	v_add_nc_u32_e32 v60, v1, v7
	v_cvt_u32_f32_e32 v5, v5
	s_delay_alu instid0(VALU_DEP_3) | instskip(NEXT) | instid1(VALU_DEP_2)
	v_add_nc_u32_e32 v61, v4, v8
	v_mul_lo_u32 v9, s20, v5
	s_clause 0x1
	s_load_b64 s[36:37], s[0:1], 0x60
	s_load_b128 s[20:23], s[0:1], 0x50
	s_xor_b32 s0, s5, s42
	s_delay_alu instid0(SALU_CYCLE_1) | instskip(SKIP_3) | instid1(VALU_DEP_1)
	s_sub_i32 s42, s0, s42
	s_waitcnt lgkmcnt(0)
	s_mul_i32 s45, s31, s42
	v_mul_hi_u32 v9, v5, v9
	v_add_nc_u32_e32 v62, v5, v9
	s_branch .LBB22_3
.LBB22_2:                               ;   in Loop: Header=BB22_3 Depth=1
	s_or_b32 exec_lo, exec_lo, s46
	v_mul_lo_u32 v0, v68, s25
	v_mul_lo_u32 v4, s20, v66
	;; [unrolled: 1-line block ×4, first 2 shown]
	v_add_co_u32 v2, vcc_lo, v2, s40
	v_add_co_ci_u32_e32 v3, vcc_lo, 0, v3, vcc_lo
	v_ashrrev_i32_e32 v1, 31, v0
	v_ashrrev_i32_e32 v5, 31, v4
	;; [unrolled: 1-line block ×3, first 2 shown]
	v_mul_lo_u32 v10, s23, v64
	v_ashrrev_i32_e32 v9, 31, v8
	v_lshlrev_b64 v[0:1], 1, v[0:1]
	v_lshlrev_b64 v[4:5], 1, v[4:5]
	v_cvt_f16_f32_e32 v12, v71
	v_ashrrev_i32_e32 v11, 31, v10
	s_delay_alu instid0(VALU_DEP_4) | instskip(SKIP_2) | instid1(VALU_DEP_3)
	v_add_co_u32 v13, vcc_lo, s34, v0
	v_add_co_ci_u32_e32 v14, vcc_lo, s35, v1, vcc_lo
	v_lshlrev_b64 v[0:1], 1, v[6:7]
	v_add_co_u32 v6, vcc_lo, v13, v4
	s_delay_alu instid0(VALU_DEP_3) | instskip(SKIP_1) | instid1(VALU_DEP_3)
	v_add_co_ci_u32_e32 v7, vcc_lo, v14, v5, vcc_lo
	v_lshlrev_b64 v[4:5], 1, v[8:9]
	v_add_co_u32 v6, vcc_lo, v6, v0
	s_delay_alu instid0(VALU_DEP_3) | instskip(SKIP_1) | instid1(VALU_DEP_3)
	;; [unrolled: 4-line block ×3, first 2 shown]
	v_add_co_ci_u32_e32 v5, vcc_lo, v7, v5, vcc_lo
	v_cmp_le_i64_e32 vcc_lo, s[26:27], v[2:3]
	v_add_co_u32 v0, s0, v4, v0
	s_delay_alu instid0(VALU_DEP_1)
	v_add_co_ci_u32_e64 v1, s0, v5, v1, s0
	s_or_b32 s39, vcc_lo, s39
	global_store_b16 v[0:1], v12, off
	s_and_not1_b32 exec_lo, exec_lo, s39
	s_cbranch_execz .LBB22_60
.LBB22_3:                               ; =>This Loop Header: Depth=1
                                        ;     Child Loop BB22_6 Depth 2
	v_sub_nc_u32_e32 v0, 0, v2
	s_mov_b32 s46, exec_lo
	v_mov_b32_e32 v71, 0
	s_delay_alu instid0(VALU_DEP_2) | instskip(NEXT) | instid1(VALU_DEP_1)
	v_max_i32_e32 v0, v2, v0
	v_mul_hi_u32 v1, v0, v60
	s_delay_alu instid0(VALU_DEP_1) | instskip(NEXT) | instid1(VALU_DEP_1)
	v_mul_lo_u32 v4, v1, s12
	v_sub_nc_u32_e32 v0, v0, v4
	v_add_nc_u32_e32 v4, 1, v1
	s_delay_alu instid0(VALU_DEP_2) | instskip(SKIP_1) | instid1(VALU_DEP_2)
	v_subrev_nc_u32_e32 v5, s12, v0
	v_cmp_le_u32_e32 vcc_lo, s12, v0
	v_dual_cndmask_b32 v1, v1, v4 :: v_dual_cndmask_b32 v0, v0, v5
	v_ashrrev_i32_e32 v4, 31, v2
	s_delay_alu instid0(VALU_DEP_2) | instskip(NEXT) | instid1(VALU_DEP_3)
	v_add_nc_u32_e32 v5, 1, v1
	v_cmp_le_u32_e32 vcc_lo, s12, v0
	s_delay_alu instid0(VALU_DEP_3) | instskip(NEXT) | instid1(VALU_DEP_3)
	v_xor_b32_e32 v4, s41, v4
	v_cndmask_b32_e32 v0, v1, v5, vcc_lo
	s_delay_alu instid0(VALU_DEP_1) | instskip(NEXT) | instid1(VALU_DEP_1)
	v_xor_b32_e32 v0, v0, v4
	v_sub_nc_u32_e32 v1, v0, v4
	s_delay_alu instid0(VALU_DEP_1) | instskip(NEXT) | instid1(VALU_DEP_1)
	v_sub_nc_u32_e32 v0, 0, v1
	v_max_i32_e32 v0, v1, v0
	s_delay_alu instid0(VALU_DEP_1) | instskip(NEXT) | instid1(VALU_DEP_1)
	v_mul_hi_u32 v4, v0, v61
	v_mul_lo_u32 v5, v4, s33
	s_delay_alu instid0(VALU_DEP_1) | instskip(SKIP_1) | instid1(VALU_DEP_2)
	v_sub_nc_u32_e32 v0, v0, v5
	v_add_nc_u32_e32 v5, 1, v4
	v_subrev_nc_u32_e32 v6, s33, v0
	v_cmp_le_u32_e32 vcc_lo, s33, v0
	s_delay_alu instid0(VALU_DEP_3) | instskip(NEXT) | instid1(VALU_DEP_3)
	v_cndmask_b32_e32 v4, v4, v5, vcc_lo
	v_cndmask_b32_e32 v0, v0, v6, vcc_lo
	v_ashrrev_i32_e32 v5, 31, v1
	s_delay_alu instid0(VALU_DEP_3) | instskip(NEXT) | instid1(VALU_DEP_3)
	v_add_nc_u32_e32 v6, 1, v4
	v_cmp_le_u32_e32 vcc_lo, s33, v0
	s_delay_alu instid0(VALU_DEP_3) | instskip(NEXT) | instid1(VALU_DEP_3)
	v_xor_b32_e32 v5, s43, v5
	v_cndmask_b32_e32 v0, v4, v6, vcc_lo
	s_delay_alu instid0(VALU_DEP_1) | instskip(NEXT) | instid1(VALU_DEP_1)
	v_xor_b32_e32 v0, v0, v5
	v_sub_nc_u32_e32 v4, v0, v5
	s_delay_alu instid0(VALU_DEP_1) | instskip(NEXT) | instid1(VALU_DEP_1)
	v_sub_nc_u32_e32 v0, 0, v4
	v_max_i32_e32 v0, v4, v0
	s_delay_alu instid0(VALU_DEP_1) | instskip(NEXT) | instid1(VALU_DEP_1)
	v_mul_hi_u32 v5, v0, v62
	v_mul_lo_u32 v6, v5, s38
	s_delay_alu instid0(VALU_DEP_1) | instskip(SKIP_1) | instid1(VALU_DEP_2)
	v_sub_nc_u32_e32 v0, v0, v6
	v_add_nc_u32_e32 v6, 1, v5
	v_subrev_nc_u32_e32 v7, s38, v0
	v_cmp_le_u32_e32 vcc_lo, s38, v0
	s_delay_alu instid0(VALU_DEP_2) | instskip(SKIP_1) | instid1(VALU_DEP_2)
	v_dual_cndmask_b32 v5, v5, v6 :: v_dual_cndmask_b32 v0, v0, v7
	v_ashrrev_i32_e32 v6, 31, v4
	v_add_nc_u32_e32 v7, 1, v5
	s_delay_alu instid0(VALU_DEP_3) | instskip(NEXT) | instid1(VALU_DEP_3)
	v_cmp_le_u32_e32 vcc_lo, s38, v0
	v_xor_b32_e32 v6, s44, v6
	s_delay_alu instid0(VALU_DEP_3) | instskip(NEXT) | instid1(VALU_DEP_1)
	v_cndmask_b32_e32 v0, v5, v7, vcc_lo
	v_xor_b32_e32 v0, v0, v6
	s_delay_alu instid0(VALU_DEP_1) | instskip(NEXT) | instid1(VALU_DEP_1)
	v_sub_nc_u32_e32 v5, v0, v6
	v_sub_nc_u32_e32 v0, 0, v5
	s_delay_alu instid0(VALU_DEP_1) | instskip(NEXT) | instid1(VALU_DEP_1)
	v_max_i32_e32 v0, v5, v0
	v_mul_hi_u32 v6, v0, v63
	s_delay_alu instid0(VALU_DEP_1) | instskip(NEXT) | instid1(VALU_DEP_1)
	v_mul_lo_u32 v7, v6, s7
	v_sub_nc_u32_e32 v0, v0, v7
	v_add_nc_u32_e32 v7, 1, v6
	s_delay_alu instid0(VALU_DEP_2) | instskip(SKIP_1) | instid1(VALU_DEP_3)
	v_subrev_nc_u32_e32 v8, s7, v0
	v_cmp_le_u32_e32 vcc_lo, s7, v0
	v_cndmask_b32_e32 v6, v6, v7, vcc_lo
	s_delay_alu instid0(VALU_DEP_3) | instskip(SKIP_1) | instid1(VALU_DEP_3)
	v_cndmask_b32_e32 v0, v0, v8, vcc_lo
	v_ashrrev_i32_e32 v7, 31, v5
	v_add_nc_u32_e32 v8, 1, v6
	s_delay_alu instid0(VALU_DEP_3) | instskip(NEXT) | instid1(VALU_DEP_3)
	v_cmp_le_u32_e32 vcc_lo, s7, v0
	v_xor_b32_e32 v7, s8, v7
	s_delay_alu instid0(VALU_DEP_3) | instskip(SKIP_1) | instid1(VALU_DEP_2)
	v_cndmask_b32_e32 v0, v6, v8, vcc_lo
	v_mul_lo_u32 v6, v1, s24
	v_xor_b32_e32 v0, v0, v7
	s_delay_alu instid0(VALU_DEP_2) | instskip(NEXT) | instid1(VALU_DEP_2)
	v_sub_nc_u32_e32 v64, v2, v6
	v_sub_nc_u32_e32 v68, v0, v7
	v_mul_lo_u32 v7, v4, s11
	s_delay_alu instid0(VALU_DEP_2) | instskip(NEXT) | instid1(VALU_DEP_2)
	v_mul_lo_u32 v0, v68, s9
	v_sub_nc_u32_e32 v65, v1, v7
	s_delay_alu instid0(VALU_DEP_2) | instskip(SKIP_1) | instid1(VALU_DEP_2)
	v_sub_nc_u32_e32 v66, v5, v0
	v_mul_lo_u32 v5, v5, s10
	v_mul_lo_u32 v0, v66, s42
	s_delay_alu instid0(VALU_DEP_2) | instskip(NEXT) | instid1(VALU_DEP_2)
	v_sub_nc_u32_e32 v67, v4, v5
	v_add_nc_u32_e32 v8, s42, v0
	s_delay_alu instid0(VALU_DEP_1)
	v_cmpx_lt_i32_e64 v0, v8
	s_cbranch_execz .LBB22_2
; %bb.4:                                ;   in Loop: Header=BB22_3 Depth=1
	v_mul_lo_u32 v0, s19, v0
	v_add_nc_u32_e32 v21, s16, v67
	v_mul_lo_u32 v5, s30, v68
	v_add_nc_u32_e32 v40, s17, v65
	v_add_nc_u32_e32 v4, s18, v64
	s_delay_alu instid0(VALU_DEP_4) | instskip(SKIP_2) | instid1(VALU_DEP_4)
	v_mul_lo_u32 v22, v21, s14
	v_cmp_gt_i32_e64 s5, s13, v21
	v_ashrrev_i32_e32 v1, 31, v0
	v_or_b32_e32 v9, v4, v40
	v_ashrrev_i32_e32 v6, 31, v5
	v_cmp_gt_i32_e64 s4, s14, v40
	v_add_nc_u32_e32 v58, -2, v4
	v_lshlrev_b64 v[0:1], 1, v[0:1]
	v_add_nc_u32_e32 v7, v40, v22
	v_lshlrev_b64 v[5:6], 1, v[5:6]
	v_add_nc_u32_e32 v44, -1, v40
	v_add_nc_u32_e32 v8, -2, v40
	v_add_nc_u32_e32 v24, -1, v21
	v_add_co_u32 v0, vcc_lo, s36, v0
	v_mul_lo_u32 v11, v7, s15
	v_add_nc_u32_e32 v7, -1, v4
	v_add_co_ci_u32_e32 v1, vcc_lo, s37, v1, vcc_lo
	v_add_co_u32 v69, vcc_lo, s28, v5
	v_or_b32_e32 v5, v9, v21
	s_delay_alu instid0(VALU_DEP_4) | instskip(SKIP_2) | instid1(VALU_DEP_4)
	v_or_b32_e32 v10, v7, v40
	v_add_co_ci_u32_e32 v70, vcc_lo, s29, v6, vcc_lo
	v_cmp_gt_i32_e32 vcc_lo, s15, v4
	v_cmp_lt_i32_e64 s0, -1, v5
	s_delay_alu instid0(VALU_DEP_4)
	v_or_b32_e32 v12, v10, v21
	v_or_b32_e32 v14, v4, v44
	v_or_b32_e32 v16, v7, v44
	v_or_b32_e32 v17, v58, v44
	s_and_b32 s0, vcc_lo, s0
	v_cmp_lt_i32_e64 s1, -1, v12
	s_and_b32 s0, s0, s4
	v_or_b32_e32 v12, v58, v40
	s_and_b32 s47, s0, s5
	v_cmp_gt_i32_e64 s0, s15, v7
	v_or_b32_e32 v15, v16, v21
	v_or_b32_e32 v20, v4, v8
	;; [unrolled: 1-line block ×4, first 2 shown]
	s_and_b32 s1, s0, s1
	v_or_b32_e32 v25, v7, v8
	s_and_b32 s1, s1, s4
	v_cmp_lt_i32_e64 s2, -1, v13
	s_and_b32 s48, s1, s5
	v_cmp_gt_i32_e64 s1, s15, v58
	v_or_b32_e32 v13, v14, v21
	v_or_b32_e32 v31, v20, v21
	;; [unrolled: 1-line block ×4, first 2 shown]
	s_and_b32 s2, s1, s2
	v_cmp_lt_i32_e64 s3, -1, v13
	s_and_b32 s2, s2, s4
	v_or_b32_e32 v26, v10, v24
	s_and_b32 s49, s2, s5
	v_cmp_gt_i32_e64 s2, s14, v44
	s_and_b32 s3, vcc_lo, s3
	s_and_b32 s65, vcc_lo, s4
	v_or_b32_e32 v28, v12, v24
	v_or_b32_e32 v29, v14, v24
	s_and_b32 s6, s3, s2
	v_cmp_lt_i32_e64 s3, -1, v15
	s_and_b32 s50, s6, s5
	v_cmp_lt_i32_e64 s6, -1, v31
	v_or_b32_e32 v31, v25, v21
	s_and_b32 s66, s0, s4
	s_and_b32 s3, s0, s3
	v_or_b32_e32 v30, v16, v24
	s_and_b32 s3, s3, s2
	s_and_b32 s53, vcc_lo, s6
	s_and_b32 s51, s3, s5
	v_cmp_lt_i32_e64 s3, -1, v19
	v_cmp_lt_i32_e64 s6, -1, v31
	v_or_b32_e32 v31, v27, v21
	s_and_b32 s67, s1, s4
	v_cmp_lt_i32_e64 s4, -1, v29
	s_and_b32 s3, s1, s3
	s_and_b32 s6, s0, s6
	;; [unrolled: 1-line block ×3, first 2 shown]
	v_or_b32_e32 v32, v17, v24
	s_and_b32 s52, s3, s5
	v_cmp_gt_i32_e64 s3, s14, v8
	s_and_b32 s4, vcc_lo, s4
	v_or_b32_e32 v34, v20, v24
	s_and_b32 s4, s4, s2
	v_or_b32_e32 v36, v25, v24
	s_and_b32 s6, s6, s3
	s_and_b32 s53, s53, s3
	s_and_b32 s54, s6, s5
	v_cmp_lt_i32_e64 s6, -1, v31
	s_and_b32 s53, s53, s5
	v_or_b32_e32 v41, v27, v24
	v_add_nc_u32_e32 v42, -2, v21
	v_subrev_nc_u32_e32 v39, s14, v22
	s_and_b32 s6, s1, s6
	v_add_nc_u32_e32 v19, v8, v22
	s_and_b32 s55, s6, s3
	v_cmp_lt_i32_e64 s6, -1, v23
	s_and_b32 s55, s55, s5
	v_cmp_gt_i32_e64 s5, s13, v24
	v_or_b32_e32 v43, v9, v42
	v_or_b32_e32 v45, v10, v42
	s_and_b32 s56, s65, s6
	v_cmp_lt_i32_e64 s6, -1, v26
	s_and_b32 s59, s4, s5
	v_cmp_lt_i32_e64 s4, -1, v32
	v_or_b32_e32 v46, v12, v42
	s_and_b32 s56, s56, s5
	s_and_b32 s57, s66, s6
	v_cmp_lt_i32_e64 s6, -1, v28
	s_and_b32 s57, s57, s5
	v_or_b32_e32 v47, v14, v42
	v_or_b32_e32 v48, v16, v42
	;; [unrolled: 1-line block ×3, first 2 shown]
	s_and_b32 s6, s67, s6
	v_subrev_nc_u32_e32 v51, s14, v39
	s_and_b32 s58, s6, s5
	v_cmp_lt_i32_e64 s6, -1, v30
	v_or_b32_e32 v52, v20, v42
	v_add_nc_u32_e32 v12, v44, v22
	v_or_b32_e32 v56, v25, v42
	v_add_nc_u32_e32 v25, v40, v39
	s_and_b32 s6, s0, s6
	v_add_nc_u32_e32 v28, v44, v39
	s_and_b32 s6, s6, s2
	;; [unrolled: 2-line block ×3, first 2 shown]
	s_and_b32 s6, s1, s4
	v_cmp_lt_i32_e64 s4, -1, v34
	s_and_b32 s6, s6, s2
	v_add_nc_u32_e32 v8, v8, v51
	s_and_b32 s61, s6, s5
	v_mul_lo_u32 v18, v12, s15
	s_and_b32 s4, vcc_lo, s4
	v_mul_lo_u32 v33, v19, s15
	s_and_b32 s6, s4, s3
	v_cmp_lt_i32_e64 s4, -1, v36
	s_and_b32 s62, s6, s5
	v_mul_lo_u32 v31, v25, s15
	v_mul_lo_u32 v35, v28, s15
	;; [unrolled: 1-line block ×3, first 2 shown]
	s_and_b32 s6, s0, s4
	v_cmp_lt_i32_e64 s4, -1, v41
	s_and_b32 s6, s6, s3
	v_add_nc_u32_e32 v41, v40, v51
	s_and_b32 s63, s6, s5
	v_mul_lo_u32 v8, v8, s15
	s_and_b32 s4, s1, s4
	v_or_b32_e32 v57, v27, v42
	s_and_b32 s6, s4, s3
	v_cmp_lt_i32_e64 s4, -1, v43
	s_and_b32 s64, s6, s5
	v_cmp_gt_i32_e64 s5, s13, v42
	v_cmp_lt_i32_e64 s6, -1, v45
	v_mul_lo_u32 v53, v41, s15
	s_and_b32 s4, s65, s4
	v_add_nc_u32_e32 v5, v4, v11
	s_and_b32 s65, s4, s5
	v_cmp_lt_i32_e64 s4, -1, v46
	s_and_b32 s6, s66, s6
	v_add_nc_u32_e32 v46, v44, v51
	s_and_b32 s66, s6, s5
	v_add_nc_u32_e32 v9, v7, v11
	s_and_b32 s6, s67, s4
	v_cmp_lt_i32_e64 s4, -1, v47
	s_and_b32 s67, s6, s5
	v_cmp_lt_i32_e64 s6, -1, v48
	v_mul_lo_u32 v54, v46, s15
	v_add_nc_u32_e32 v11, v58, v11
	s_and_b32 s4, vcc_lo, s4
	v_add_nc_u32_e32 v13, v4, v18
	s_and_b32 s4, s4, s2
	s_and_b32 s68, s0, s6
	;; [unrolled: 1-line block ×3, first 2 shown]
	v_cmp_lt_i32_e64 s4, -1, v50
	s_and_b32 s68, s68, s2
	v_add_nc_u32_e32 v15, v7, v18
	v_add_nc_u32_e32 v17, v58, v18
	;; [unrolled: 1-line block ×3, first 2 shown]
	s_and_b32 s69, s1, s4
	v_cmp_lt_i32_e64 s4, -1, v52
	s_and_b32 s2, s69, s2
	v_add_nc_u32_e32 v21, v7, v33
	s_and_b32 s69, s2, s5
	v_add_nc_u32_e32 v23, v58, v33
	s_and_b32 s2, vcc_lo, s4
	v_add_nc_u32_e32 v25, v4, v31
	s_and_b32 s2, s2, s3
	v_add_nc_u32_e32 v27, v7, v31
	v_add_nc_u32_e32 v29, v58, v31
	;; [unrolled: 1-line block ×15, first 2 shown]
	s_and_b32 s4, s2, s5
	v_cmp_lt_i32_e64 s2, -1, v57
	v_add_nc_u32_e32 v57, v7, v8
	v_add_nc_u32_e32 v71, v58, v8
	v_ashrrev_i32_e32 v6, 31, v5
	v_ashrrev_i32_e32 v10, 31, v9
	;; [unrolled: 1-line block ×24, first 2 shown]
	v_cmp_lt_i32_e32 vcc_lo, -1, v56
	v_ashrrev_i32_e32 v56, 31, v55
	v_ashrrev_i32_e32 v58, 31, v57
	;; [unrolled: 1-line block ×3, first 2 shown]
	v_mul_lo_u32 v4, s45, v66
	s_and_b32 s0, s0, vcc_lo
	s_and_b32 s1, s1, s2
	v_lshlrev_b64 v[6:7], 1, v[5:6]
	v_lshlrev_b64 v[8:9], 1, v[9:10]
	;; [unrolled: 1-line block ×27, first 2 shown]
	v_mov_b32_e32 v71, 0
	s_and_b32 s0, s0, s3
	s_and_b32 s1, s1, s3
	;; [unrolled: 1-line block ×5, first 2 shown]
	s_mov_b32 s2, s42
	s_branch .LBB22_6
.LBB22_5:                               ;   in Loop: Header=BB22_6 Depth=2
	s_or_b32 exec_lo, exec_lo, s3
	s_waitcnt vmcnt(26)
	v_fma_mix_f32 v5, v5, v72, v71 op_sel_hi:[0,1,0]
	v_add_co_u32 v0, vcc_lo, v0, 54
	v_add_co_ci_u32_e32 v1, vcc_lo, 0, v1, vcc_lo
	s_waitcnt vmcnt(25)
	s_delay_alu instid0(VALU_DEP_3) | instskip(SKIP_2) | instid1(SALU_CYCLE_1)
	v_fma_mix_f32 v5, v77, v75, v5 op_sel_hi:[0,1,0]
	v_add_nc_u32_e32 v4, s31, v4
	s_add_i32 s2, s2, -1
	s_cmp_eq_u32 s2, 0
	s_waitcnt vmcnt(24)
	v_fma_mix_f32 v5, v76, v78, v5 op_sel_hi:[0,1,0]
	s_waitcnt vmcnt(23)
	s_delay_alu instid0(VALU_DEP_1) | instskip(SKIP_1) | instid1(VALU_DEP_1)
	v_fma_mix_f32 v5, v81, v79, v5 op_sel_hi:[0,1,0]
	s_waitcnt vmcnt(22)
	v_fma_mix_f32 v5, v80, v82, v5 op_sel_hi:[0,1,0]
	s_waitcnt vmcnt(21)
	s_delay_alu instid0(VALU_DEP_1) | instskip(SKIP_1) | instid1(VALU_DEP_1)
	v_fma_mix_f32 v5, v85, v83, v5 op_sel_hi:[0,1,0]
	;; [unrolled: 5-line block ×12, first 2 shown]
	s_waitcnt vmcnt(0)
	v_fma_mix_f32 v71, v124, v126, v5 op_sel_hi:[0,1,0]
	s_cbranch_scc1 .LBB22_2
.LBB22_6:                               ;   Parent Loop BB22_3 Depth=1
                                        ; =>  This Inner Loop Header: Depth=2
	global_load_u16 v72, v[0:1], off
	v_ashrrev_i32_e32 v5, 31, v4
	s_delay_alu instid0(VALU_DEP_1) | instskip(SKIP_1) | instid1(VALU_DEP_2)
	v_lshlrev_b64 v[73:74], 1, v[4:5]
	v_mov_b32_e32 v5, 0
	v_add_co_u32 v73, vcc_lo, v69, v73
	s_delay_alu instid0(VALU_DEP_3)
	v_add_co_ci_u32_e32 v74, vcc_lo, v70, v74, vcc_lo
	s_and_saveexec_b32 s3, s47
	s_cbranch_execz .LBB22_8
; %bb.7:                                ;   in Loop: Header=BB22_6 Depth=2
	s_delay_alu instid0(VALU_DEP_2) | instskip(NEXT) | instid1(VALU_DEP_2)
	v_add_co_u32 v75, vcc_lo, v73, v6
	v_add_co_ci_u32_e32 v76, vcc_lo, v74, v7, vcc_lo
	global_load_u16 v5, v[75:76], off
	s_waitcnt vmcnt(0)
	v_cvt_f32_f16_e32 v5, v5
.LBB22_8:                               ;   in Loop: Header=BB22_6 Depth=2
	s_or_b32 exec_lo, exec_lo, s3
	global_load_u16 v75, v[0:1], off offset:2
	v_dual_mov_b32 v76, 0 :: v_dual_mov_b32 v77, 0
	s_and_saveexec_b32 s3, s48
	s_cbranch_execz .LBB22_10
; %bb.9:                                ;   in Loop: Header=BB22_6 Depth=2
	v_add_co_u32 v77, vcc_lo, v73, v8
	v_add_co_ci_u32_e32 v78, vcc_lo, v74, v9, vcc_lo
	global_load_u16 v77, v[77:78], off
	s_waitcnt vmcnt(0)
	v_cvt_f32_f16_e32 v77, v77
.LBB22_10:                              ;   in Loop: Header=BB22_6 Depth=2
	s_or_b32 exec_lo, exec_lo, s3
	global_load_u16 v78, v[0:1], off offset:4
	s_and_saveexec_b32 s3, s49
	s_cbranch_execz .LBB22_12
; %bb.11:                               ;   in Loop: Header=BB22_6 Depth=2
	v_add_co_u32 v79, vcc_lo, v73, v10
	v_add_co_ci_u32_e32 v80, vcc_lo, v74, v11, vcc_lo
	global_load_u16 v76, v[79:80], off
	s_waitcnt vmcnt(0)
	v_cvt_f32_f16_e32 v76, v76
.LBB22_12:                              ;   in Loop: Header=BB22_6 Depth=2
	s_or_b32 exec_lo, exec_lo, s3
	global_load_u16 v79, v[0:1], off offset:6
	v_dual_mov_b32 v80, 0 :: v_dual_mov_b32 v81, 0
	s_and_saveexec_b32 s3, s50
	s_cbranch_execz .LBB22_14
; %bb.13:                               ;   in Loop: Header=BB22_6 Depth=2
	v_add_co_u32 v81, vcc_lo, v73, v12
	v_add_co_ci_u32_e32 v82, vcc_lo, v74, v13, vcc_lo
	global_load_u16 v81, v[81:82], off
	s_waitcnt vmcnt(0)
	v_cvt_f32_f16_e32 v81, v81
.LBB22_14:                              ;   in Loop: Header=BB22_6 Depth=2
	s_or_b32 exec_lo, exec_lo, s3
	global_load_u16 v82, v[0:1], off offset:8
	s_and_saveexec_b32 s3, s51
	s_cbranch_execz .LBB22_16
; %bb.15:                               ;   in Loop: Header=BB22_6 Depth=2
	v_add_co_u32 v83, vcc_lo, v73, v14
	v_add_co_ci_u32_e32 v84, vcc_lo, v74, v15, vcc_lo
	global_load_u16 v80, v[83:84], off
	s_waitcnt vmcnt(0)
	v_cvt_f32_f16_e32 v80, v80
.LBB22_16:                              ;   in Loop: Header=BB22_6 Depth=2
	s_or_b32 exec_lo, exec_lo, s3
	global_load_u16 v83, v[0:1], off offset:10
	v_dual_mov_b32 v84, 0 :: v_dual_mov_b32 v85, 0
	s_and_saveexec_b32 s3, s52
	s_cbranch_execz .LBB22_18
; %bb.17:                               ;   in Loop: Header=BB22_6 Depth=2
	v_add_co_u32 v85, vcc_lo, v73, v16
	v_add_co_ci_u32_e32 v86, vcc_lo, v74, v17, vcc_lo
	global_load_u16 v85, v[85:86], off
	s_waitcnt vmcnt(0)
	v_cvt_f32_f16_e32 v85, v85
.LBB22_18:                              ;   in Loop: Header=BB22_6 Depth=2
	;; [unrolled: 23-line block ×12, first 2 shown]
	s_or_b32 exec_lo, exec_lo, s3
	global_load_u16 v126, v[0:1], off offset:52
	s_and_saveexec_b32 s3, s1
	s_cbranch_execz .LBB22_5
; %bb.59:                               ;   in Loop: Header=BB22_6 Depth=2
	v_add_co_u32 v73, vcc_lo, v73, v58
	v_add_co_ci_u32_e32 v74, vcc_lo, v74, v59, vcc_lo
	global_load_u16 v73, v[73:74], off
	s_waitcnt vmcnt(0)
	v_cvt_f32_f16_e32 v124, v73
	s_branch .LBB22_5
.LBB22_60:
	s_nop 0
	s_sendmsg sendmsg(MSG_DEALLOC_VGPRS)
	s_endpgm
	.section	.rodata,"a",@progbits
	.p2align	6, 0x0
	.amdhsa_kernel _ZN2at6native12_GLOBAL__N_143conv_depthwise3d_cuda_backward_input_kernelIN3c104HalfEfLi3ELi3ELi3ELi1ELi1ELi1ELi1ELi1ELi1EEEvN5torch10headeronly6detail27GenericPackedTensorAccessorINS7_14TensorAccessorINS3_8ArrayRefIlEEKT_Lm4ENS6_16DefaultPtrTraitsEiEENS_6detail16IndexBoundsCheckILm5EiEESD_Lm5ESE_iEENS8_INS9_ISB_SC_Lm4ESE_iEESI_SC_Lm5ESE_iEESJ_iiiiiiiii
		.amdhsa_group_segment_fixed_size 0
		.amdhsa_private_segment_fixed_size 0
		.amdhsa_kernarg_size 440
		.amdhsa_user_sgpr_count 15
		.amdhsa_user_sgpr_dispatch_ptr 0
		.amdhsa_user_sgpr_queue_ptr 0
		.amdhsa_user_sgpr_kernarg_segment_ptr 1
		.amdhsa_user_sgpr_dispatch_id 0
		.amdhsa_user_sgpr_private_segment_size 0
		.amdhsa_wavefront_size32 1
		.amdhsa_uses_dynamic_stack 0
		.amdhsa_enable_private_segment 0
		.amdhsa_system_sgpr_workgroup_id_x 1
		.amdhsa_system_sgpr_workgroup_id_y 0
		.amdhsa_system_sgpr_workgroup_id_z 0
		.amdhsa_system_sgpr_workgroup_info 0
		.amdhsa_system_vgpr_workitem_id 0
		.amdhsa_next_free_vgpr 127
		.amdhsa_next_free_sgpr 70
		.amdhsa_reserve_vcc 1
		.amdhsa_float_round_mode_32 0
		.amdhsa_float_round_mode_16_64 0
		.amdhsa_float_denorm_mode_32 3
		.amdhsa_float_denorm_mode_16_64 3
		.amdhsa_dx10_clamp 1
		.amdhsa_ieee_mode 1
		.amdhsa_fp16_overflow 0
		.amdhsa_workgroup_processor_mode 1
		.amdhsa_memory_ordered 1
		.amdhsa_forward_progress 0
		.amdhsa_shared_vgpr_count 0
		.amdhsa_exception_fp_ieee_invalid_op 0
		.amdhsa_exception_fp_denorm_src 0
		.amdhsa_exception_fp_ieee_div_zero 0
		.amdhsa_exception_fp_ieee_overflow 0
		.amdhsa_exception_fp_ieee_underflow 0
		.amdhsa_exception_fp_ieee_inexact 0
		.amdhsa_exception_int_div_zero 0
	.end_amdhsa_kernel
	.section	.text._ZN2at6native12_GLOBAL__N_143conv_depthwise3d_cuda_backward_input_kernelIN3c104HalfEfLi3ELi3ELi3ELi1ELi1ELi1ELi1ELi1ELi1EEEvN5torch10headeronly6detail27GenericPackedTensorAccessorINS7_14TensorAccessorINS3_8ArrayRefIlEEKT_Lm4ENS6_16DefaultPtrTraitsEiEENS_6detail16IndexBoundsCheckILm5EiEESD_Lm5ESE_iEENS8_INS9_ISB_SC_Lm4ESE_iEESI_SC_Lm5ESE_iEESJ_iiiiiiiii,"axG",@progbits,_ZN2at6native12_GLOBAL__N_143conv_depthwise3d_cuda_backward_input_kernelIN3c104HalfEfLi3ELi3ELi3ELi1ELi1ELi1ELi1ELi1ELi1EEEvN5torch10headeronly6detail27GenericPackedTensorAccessorINS7_14TensorAccessorINS3_8ArrayRefIlEEKT_Lm4ENS6_16DefaultPtrTraitsEiEENS_6detail16IndexBoundsCheckILm5EiEESD_Lm5ESE_iEENS8_INS9_ISB_SC_Lm4ESE_iEESI_SC_Lm5ESE_iEESJ_iiiiiiiii,comdat
.Lfunc_end22:
	.size	_ZN2at6native12_GLOBAL__N_143conv_depthwise3d_cuda_backward_input_kernelIN3c104HalfEfLi3ELi3ELi3ELi1ELi1ELi1ELi1ELi1ELi1EEEvN5torch10headeronly6detail27GenericPackedTensorAccessorINS7_14TensorAccessorINS3_8ArrayRefIlEEKT_Lm4ENS6_16DefaultPtrTraitsEiEENS_6detail16IndexBoundsCheckILm5EiEESD_Lm5ESE_iEENS8_INS9_ISB_SC_Lm4ESE_iEESI_SC_Lm5ESE_iEESJ_iiiiiiiii, .Lfunc_end22-_ZN2at6native12_GLOBAL__N_143conv_depthwise3d_cuda_backward_input_kernelIN3c104HalfEfLi3ELi3ELi3ELi1ELi1ELi1ELi1ELi1ELi1EEEvN5torch10headeronly6detail27GenericPackedTensorAccessorINS7_14TensorAccessorINS3_8ArrayRefIlEEKT_Lm4ENS6_16DefaultPtrTraitsEiEENS_6detail16IndexBoundsCheckILm5EiEESD_Lm5ESE_iEENS8_INS9_ISB_SC_Lm4ESE_iEESI_SC_Lm5ESE_iEESJ_iiiiiiiii
                                        ; -- End function
	.section	.AMDGPU.csdata,"",@progbits
; Kernel info:
; codeLenInByte = 4556
; NumSgprs: 72
; NumVgprs: 127
; ScratchSize: 0
; MemoryBound: 0
; FloatMode: 240
; IeeeMode: 1
; LDSByteSize: 0 bytes/workgroup (compile time only)
; SGPRBlocks: 8
; VGPRBlocks: 15
; NumSGPRsForWavesPerEU: 72
; NumVGPRsForWavesPerEU: 127
; Occupancy: 10
; WaveLimiterHint : 0
; COMPUTE_PGM_RSRC2:SCRATCH_EN: 0
; COMPUTE_PGM_RSRC2:USER_SGPR: 15
; COMPUTE_PGM_RSRC2:TRAP_HANDLER: 0
; COMPUTE_PGM_RSRC2:TGID_X_EN: 1
; COMPUTE_PGM_RSRC2:TGID_Y_EN: 0
; COMPUTE_PGM_RSRC2:TGID_Z_EN: 0
; COMPUTE_PGM_RSRC2:TIDIG_COMP_CNT: 0
	.section	.text._ZN2at6native12_GLOBAL__N_143conv_depthwise3d_cuda_backward_input_kernelIN3c104HalfEfLi3ELi3ELi3ELi1ELi1ELi1ELin1ELin1ELin1EEEvN5torch10headeronly6detail27GenericPackedTensorAccessorINS7_14TensorAccessorINS3_8ArrayRefIlEEKT_Lm4ENS6_16DefaultPtrTraitsEiEENS_6detail16IndexBoundsCheckILm5EiEESD_Lm5ESE_iEENS8_INS9_ISB_SC_Lm4ESE_iEESI_SC_Lm5ESE_iEESJ_iiiiiiiii,"axG",@progbits,_ZN2at6native12_GLOBAL__N_143conv_depthwise3d_cuda_backward_input_kernelIN3c104HalfEfLi3ELi3ELi3ELi1ELi1ELi1ELin1ELin1ELin1EEEvN5torch10headeronly6detail27GenericPackedTensorAccessorINS7_14TensorAccessorINS3_8ArrayRefIlEEKT_Lm4ENS6_16DefaultPtrTraitsEiEENS_6detail16IndexBoundsCheckILm5EiEESD_Lm5ESE_iEENS8_INS9_ISB_SC_Lm4ESE_iEESI_SC_Lm5ESE_iEESJ_iiiiiiiii,comdat
	.globl	_ZN2at6native12_GLOBAL__N_143conv_depthwise3d_cuda_backward_input_kernelIN3c104HalfEfLi3ELi3ELi3ELi1ELi1ELi1ELin1ELin1ELin1EEEvN5torch10headeronly6detail27GenericPackedTensorAccessorINS7_14TensorAccessorINS3_8ArrayRefIlEEKT_Lm4ENS6_16DefaultPtrTraitsEiEENS_6detail16IndexBoundsCheckILm5EiEESD_Lm5ESE_iEENS8_INS9_ISB_SC_Lm4ESE_iEESI_SC_Lm5ESE_iEESJ_iiiiiiiii ; -- Begin function _ZN2at6native12_GLOBAL__N_143conv_depthwise3d_cuda_backward_input_kernelIN3c104HalfEfLi3ELi3ELi3ELi1ELi1ELi1ELin1ELin1ELin1EEEvN5torch10headeronly6detail27GenericPackedTensorAccessorINS7_14TensorAccessorINS3_8ArrayRefIlEEKT_Lm4ENS6_16DefaultPtrTraitsEiEENS_6detail16IndexBoundsCheckILm5EiEESD_Lm5ESE_iEENS8_INS9_ISB_SC_Lm4ESE_iEESI_SC_Lm5ESE_iEESJ_iiiiiiiii
	.p2align	8
	.type	_ZN2at6native12_GLOBAL__N_143conv_depthwise3d_cuda_backward_input_kernelIN3c104HalfEfLi3ELi3ELi3ELi1ELi1ELi1ELin1ELin1ELin1EEEvN5torch10headeronly6detail27GenericPackedTensorAccessorINS7_14TensorAccessorINS3_8ArrayRefIlEEKT_Lm4ENS6_16DefaultPtrTraitsEiEENS_6detail16IndexBoundsCheckILm5EiEESD_Lm5ESE_iEENS8_INS9_ISB_SC_Lm4ESE_iEESI_SC_Lm5ESE_iEESJ_iiiiiiiii,@function
_ZN2at6native12_GLOBAL__N_143conv_depthwise3d_cuda_backward_input_kernelIN3c104HalfEfLi3ELi3ELi3ELi1ELi1ELi1ELin1ELin1ELin1EEEvN5torch10headeronly6detail27GenericPackedTensorAccessorINS7_14TensorAccessorINS3_8ArrayRefIlEEKT_Lm4ENS6_16DefaultPtrTraitsEiEENS_6detail16IndexBoundsCheckILm5EiEESD_Lm5ESE_iEENS8_INS9_ISB_SC_Lm4ESE_iEESI_SC_Lm5ESE_iEESJ_iiiiiiiii: ; @_ZN2at6native12_GLOBAL__N_143conv_depthwise3d_cuda_backward_input_kernelIN3c104HalfEfLi3ELi3ELi3ELi1ELi1ELi1ELin1ELin1ELin1EEEvN5torch10headeronly6detail27GenericPackedTensorAccessorINS7_14TensorAccessorINS3_8ArrayRefIlEEKT_Lm4ENS6_16DefaultPtrTraitsEiEENS_6detail16IndexBoundsCheckILm5EiEESD_Lm5ESE_iEENS8_INS9_ISB_SC_Lm4ESE_iEESI_SC_Lm5ESE_iEESJ_iiiiiiiii
; %bb.0:
	s_clause 0x2
	s_load_b128 s[44:47], s[0:1], 0x38
	s_load_b32 s4, s[0:1], 0xc4
	s_load_b64 s[60:61], s[0:1], 0x48
	s_mov_b32 s6, exec_lo
	s_waitcnt lgkmcnt(0)
	s_abs_i32 s74, s45
	s_add_u32 s2, s0, 0xb8
	v_cvt_f32_u32_e32 v1, s74
	s_addc_u32 s3, s1, 0
	s_and_b32 s4, s4, 0xffff
	s_mul_i32 s62, s61, s44
	s_delay_alu instid0(SALU_CYCLE_1) | instskip(SKIP_3) | instid1(VALU_DEP_1)
	s_ashr_i32 s63, s62, 31
	v_rcp_iflag_f32_e32 v2, v1
	s_waitcnt_depctr 0xfff
	v_dual_mov_b32 v1, 0 :: v_dual_mul_f32 v4, 0x4f7ffffe, v2
	v_mad_u64_u32 v[2:3], null, s4, s15, v[0:1]
	s_delay_alu instid0(VALU_DEP_2) | instskip(NEXT) | instid1(VALU_DEP_1)
	v_cvt_u32_f32_e32 v0, v4
	v_readfirstlane_b32 s5, v0
	s_delay_alu instid0(VALU_DEP_3)
	v_cmpx_gt_i64_e64 s[62:63], v[2:3]
	s_cbranch_execz .LBB23_60
; %bb.1:
	s_load_b64 s[8:9], s[0:1], 0xa0
	s_load_b32 s2, s[2:3], 0x0
	s_clause 0x2
	s_load_b128 s[52:55], s[0:1], 0x90
	s_load_b32 s3, s[0:1], 0x7c
	s_load_b128 s[48:51], s[0:1], 0xc
                                        ; implicit-def: $vgpr130 : SGPR spill to VGPR lane
	s_sub_i32 s6, 0, s74
	s_clause 0x3
	s_load_b64 s[68:69], s[0:1], 0x1c
	s_load_b64 s[70:71], s[0:1], 0x30
	;; [unrolled: 1-line block ×3, first 2 shown]
	s_load_b128 s[56:59], s[0:1], 0x50
	s_ashr_i32 s75, s45, 31
	v_mul_lo_u32 v1, s6, v0
	s_mov_b32 s76, 0
	s_delay_alu instid0(VALU_DEP_1) | instskip(SKIP_2) | instid1(VALU_DEP_2)
	v_mul_hi_u32 v1, v0, v1
	s_waitcnt lgkmcnt(0)
	v_writelane_b32 v130, s8, 0
	v_add_nc_u32_e32 v63, v0, v1
	v_writelane_b32 v130, s9, 1
	s_load_b64 s[8:9], s[0:1], 0x0
	s_ashr_i32 s1, s48, 31
	s_delay_alu instid0(SALU_CYCLE_1) | instskip(SKIP_2) | instid1(SALU_CYCLE_1)
	s_xor_b32 s1, s1, s75
	v_writelane_b32 v130, s3, 2
	s_mul_i32 s3, s6, s5
	s_mul_hi_u32 s3, s5, s3
	s_delay_alu instid0(SALU_CYCLE_1) | instskip(SKIP_3) | instid1(SALU_CYCLE_1)
	s_add_i32 s5, s5, s3
	s_abs_i32 s3, s48
	s_mul_i32 s48, s2, s4
	s_mul_hi_u32 s0, s3, s5
	s_mul_i32 s5, s0, s74
	s_delay_alu instid0(SALU_CYCLE_1)
	s_sub_i32 s3, s3, s5
	s_add_i32 s5, s0, 1
	s_sub_i32 s7, s3, s74
	s_cmp_ge_u32 s3, s74
	s_waitcnt lgkmcnt(0)
	v_writelane_b32 v130, s8, 3
	s_cselect_b32 s0, s5, s0
	s_cselect_b32 s3, s7, s3
	s_add_i32 s5, s0, 1
	s_cmp_ge_u32 s3, s74
	v_writelane_b32 v130, s9, 4
	s_cselect_b32 s0, s5, s0
	s_abs_i32 s79, s60
	s_abs_i32 s80, s47
	v_cvt_f32_u32_e32 v4, s79
	v_cvt_f32_u32_e32 v5, s80
	s_abs_i32 s81, s46
	s_abs_i32 s82, s52
	;; [unrolled: 1-line block ×3, first 2 shown]
	v_rcp_iflag_f32_e32 v4, v4
	s_abs_i32 s84, s54
	v_cvt_f32_u32_e32 v6, s81
	v_cvt_f32_u32_e32 v7, s82
	v_cvt_f32_u32_e32 v8, s83
	v_cvt_f32_u32_e32 v9, s84
	v_rcp_iflag_f32_e32 v5, v5
	v_rcp_iflag_f32_e32 v6, v6
	;; [unrolled: 1-line block ×5, first 2 shown]
	v_mul_f32_e32 v4, 0x4f7ffffe, v4
	s_sub_i32 s2, 0, s79
	s_sub_i32 s3, 0, s80
	;; [unrolled: 1-line block ×4, first 2 shown]
	v_mul_f32_e32 v5, 0x4f7ffffe, v5
	v_cvt_u32_f32_e32 v4, v4
	v_dual_mul_f32 v6, 0x4f7ffffe, v6 :: v_dual_mul_f32 v7, 0x4f7ffffe, v7
	s_waitcnt_depctr 0xfff
	v_dual_mul_f32 v8, 0x4f7ffffe, v8 :: v_dual_mul_f32 v9, 0x4f7ffffe, v9
	v_mul_lo_u32 v10, s2, v4
	v_cvt_u32_f32_e32 v5, v5
	v_cvt_u32_f32_e32 v6, v6
	;; [unrolled: 1-line block ×5, first 2 shown]
	s_sub_i32 s6, 0, s83
	s_sub_i32 s2, 0, s84
	v_mul_lo_u32 v11, s3, v5
	v_mul_hi_u32 v10, v4, v10
	v_mul_lo_u32 v12, s4, v6
	v_mul_lo_u32 v13, s5, v7
	;; [unrolled: 1-line block ×4, first 2 shown]
	s_xor_b32 s0, s0, s1
	s_ashr_i32 s78, s60, 31
	v_mul_hi_u32 v11, v5, v11
	v_add_nc_u32_e32 v60, v4, v10
	v_mul_hi_u32 v4, v6, v12
	v_mul_hi_u32 v10, v7, v13
	v_mul_hi_u32 v12, v8, v14
	v_mul_hi_u32 v13, v9, v15
	s_sub_i32 s85, s0, s1
	s_ashr_i32 s86, s47, 31
	v_add_nc_u32_e32 v61, v5, v11
	s_ashr_i32 s87, s46, 31
	v_add_nc_u32_e32 v62, v6, v4
	v_add_nc_u32_e32 v64, v7, v10
	;; [unrolled: 1-line block ×4, first 2 shown]
	s_ashr_i32 s88, s52, 31
	s_ashr_i32 s89, s53, 31
	;; [unrolled: 1-line block ×3, first 2 shown]
	s_branch .LBB23_3
.LBB23_2:                               ;   in Loop: Header=BB23_3 Depth=1
	s_or_b32 exec_lo, exec_lo, s92
	v_mul_lo_u32 v0, v71, s61
	v_mul_lo_u32 v4, s56, v69
	;; [unrolled: 1-line block ×4, first 2 shown]
	v_add_co_u32 v2, vcc_lo, v2, s48
	v_add_co_ci_u32_e32 v3, vcc_lo, 0, v3, vcc_lo
	v_ashrrev_i32_e32 v1, 31, v0
	v_ashrrev_i32_e32 v5, 31, v4
	;; [unrolled: 1-line block ×3, first 2 shown]
	v_mul_lo_u32 v10, s59, v67
	v_ashrrev_i32_e32 v9, 31, v8
	v_lshlrev_b64 v[0:1], 1, v[0:1]
	v_lshlrev_b64 v[4:5], 1, v[4:5]
	v_cvt_f16_f32_e32 v12, v74
	v_ashrrev_i32_e32 v11, 31, v10
	s_delay_alu instid0(VALU_DEP_4) | instskip(SKIP_2) | instid1(VALU_DEP_3)
	v_add_co_u32 v13, vcc_lo, s70, v0
	v_add_co_ci_u32_e32 v14, vcc_lo, s71, v1, vcc_lo
	v_lshlrev_b64 v[0:1], 1, v[6:7]
	v_add_co_u32 v6, vcc_lo, v13, v4
	s_delay_alu instid0(VALU_DEP_3) | instskip(SKIP_1) | instid1(VALU_DEP_3)
	v_add_co_ci_u32_e32 v7, vcc_lo, v14, v5, vcc_lo
	v_lshlrev_b64 v[4:5], 1, v[8:9]
	v_add_co_u32 v6, vcc_lo, v6, v0
	s_delay_alu instid0(VALU_DEP_3) | instskip(SKIP_1) | instid1(VALU_DEP_3)
	;; [unrolled: 4-line block ×3, first 2 shown]
	v_add_co_ci_u32_e32 v5, vcc_lo, v7, v5, vcc_lo
	v_cmp_le_i64_e32 vcc_lo, s[62:63], v[2:3]
	v_add_co_u32 v0, s0, v4, v0
	s_delay_alu instid0(VALU_DEP_1)
	v_add_co_ci_u32_e64 v1, s0, v5, v1, s0
	s_or_b32 s76, vcc_lo, s76
	global_store_b16 v[0:1], v12, off
	s_and_not1_b32 exec_lo, exec_lo, s76
	s_cbranch_execz .LBB23_60
.LBB23_3:                               ; =>This Loop Header: Depth=1
                                        ;     Child Loop BB23_6 Depth 2
	v_sub_nc_u32_e32 v0, 0, v2
	v_mov_b32_e32 v74, 0
	s_mov_b32 s92, exec_lo
	s_delay_alu instid0(VALU_DEP_2) | instskip(NEXT) | instid1(VALU_DEP_1)
	v_max_i32_e32 v0, v2, v0
	v_mul_hi_u32 v1, v0, v60
	s_delay_alu instid0(VALU_DEP_1) | instskip(NEXT) | instid1(VALU_DEP_1)
	v_mul_lo_u32 v4, v1, s79
	v_sub_nc_u32_e32 v0, v0, v4
	v_add_nc_u32_e32 v4, 1, v1
	s_delay_alu instid0(VALU_DEP_2) | instskip(SKIP_1) | instid1(VALU_DEP_2)
	v_subrev_nc_u32_e32 v5, s79, v0
	v_cmp_le_u32_e32 vcc_lo, s79, v0
	v_dual_cndmask_b32 v1, v1, v4 :: v_dual_cndmask_b32 v0, v0, v5
	v_ashrrev_i32_e32 v4, 31, v2
	s_delay_alu instid0(VALU_DEP_2) | instskip(NEXT) | instid1(VALU_DEP_3)
	v_add_nc_u32_e32 v5, 1, v1
	v_cmp_le_u32_e32 vcc_lo, s79, v0
	s_delay_alu instid0(VALU_DEP_3) | instskip(NEXT) | instid1(VALU_DEP_3)
	v_xor_b32_e32 v4, s78, v4
	v_cndmask_b32_e32 v0, v1, v5, vcc_lo
	s_delay_alu instid0(VALU_DEP_1) | instskip(NEXT) | instid1(VALU_DEP_1)
	v_xor_b32_e32 v0, v0, v4
	v_sub_nc_u32_e32 v1, v0, v4
	s_delay_alu instid0(VALU_DEP_1) | instskip(NEXT) | instid1(VALU_DEP_1)
	v_sub_nc_u32_e32 v0, 0, v1
	v_max_i32_e32 v0, v1, v0
	s_delay_alu instid0(VALU_DEP_1) | instskip(NEXT) | instid1(VALU_DEP_1)
	v_mul_hi_u32 v4, v0, v61
	v_mul_lo_u32 v5, v4, s80
	s_delay_alu instid0(VALU_DEP_1) | instskip(SKIP_1) | instid1(VALU_DEP_2)
	v_sub_nc_u32_e32 v0, v0, v5
	v_add_nc_u32_e32 v5, 1, v4
	v_subrev_nc_u32_e32 v6, s80, v0
	v_cmp_le_u32_e32 vcc_lo, s80, v0
	s_delay_alu instid0(VALU_DEP_3) | instskip(NEXT) | instid1(VALU_DEP_3)
	v_cndmask_b32_e32 v4, v4, v5, vcc_lo
	v_cndmask_b32_e32 v0, v0, v6, vcc_lo
	v_ashrrev_i32_e32 v5, 31, v1
	s_delay_alu instid0(VALU_DEP_3) | instskip(NEXT) | instid1(VALU_DEP_3)
	v_add_nc_u32_e32 v6, 1, v4
	v_cmp_le_u32_e32 vcc_lo, s80, v0
	s_delay_alu instid0(VALU_DEP_3) | instskip(NEXT) | instid1(VALU_DEP_3)
	v_xor_b32_e32 v5, s86, v5
	v_cndmask_b32_e32 v0, v4, v6, vcc_lo
	s_delay_alu instid0(VALU_DEP_1) | instskip(NEXT) | instid1(VALU_DEP_1)
	v_xor_b32_e32 v0, v0, v5
	v_sub_nc_u32_e32 v4, v0, v5
	s_delay_alu instid0(VALU_DEP_1) | instskip(NEXT) | instid1(VALU_DEP_1)
	v_sub_nc_u32_e32 v0, 0, v4
	v_max_i32_e32 v0, v4, v0
	s_delay_alu instid0(VALU_DEP_1) | instskip(NEXT) | instid1(VALU_DEP_1)
	v_mul_hi_u32 v5, v0, v62
	v_mul_lo_u32 v6, v5, s81
	s_delay_alu instid0(VALU_DEP_1) | instskip(SKIP_1) | instid1(VALU_DEP_2)
	v_sub_nc_u32_e32 v0, v0, v6
	v_add_nc_u32_e32 v6, 1, v5
	v_subrev_nc_u32_e32 v7, s81, v0
	v_cmp_le_u32_e32 vcc_lo, s81, v0
	s_delay_alu instid0(VALU_DEP_2) | instskip(SKIP_1) | instid1(VALU_DEP_2)
	v_dual_cndmask_b32 v5, v5, v6 :: v_dual_cndmask_b32 v0, v0, v7
	v_ashrrev_i32_e32 v6, 31, v4
	v_add_nc_u32_e32 v7, 1, v5
	s_delay_alu instid0(VALU_DEP_3) | instskip(NEXT) | instid1(VALU_DEP_3)
	v_cmp_le_u32_e32 vcc_lo, s81, v0
	v_xor_b32_e32 v6, s87, v6
	s_delay_alu instid0(VALU_DEP_3) | instskip(NEXT) | instid1(VALU_DEP_1)
	v_cndmask_b32_e32 v0, v5, v7, vcc_lo
	v_xor_b32_e32 v0, v0, v6
	s_delay_alu instid0(VALU_DEP_1) | instskip(NEXT) | instid1(VALU_DEP_1)
	v_sub_nc_u32_e32 v5, v0, v6
	v_sub_nc_u32_e32 v0, 0, v5
	s_delay_alu instid0(VALU_DEP_1) | instskip(NEXT) | instid1(VALU_DEP_1)
	v_max_i32_e32 v0, v5, v0
	v_mul_hi_u32 v6, v0, v63
	s_delay_alu instid0(VALU_DEP_1) | instskip(NEXT) | instid1(VALU_DEP_1)
	v_mul_lo_u32 v7, v6, s74
	v_sub_nc_u32_e32 v0, v0, v7
	v_add_nc_u32_e32 v7, 1, v6
	s_delay_alu instid0(VALU_DEP_2) | instskip(SKIP_1) | instid1(VALU_DEP_3)
	v_subrev_nc_u32_e32 v8, s74, v0
	v_cmp_le_u32_e32 vcc_lo, s74, v0
	v_cndmask_b32_e32 v6, v6, v7, vcc_lo
	s_delay_alu instid0(VALU_DEP_3) | instskip(SKIP_1) | instid1(VALU_DEP_3)
	v_cndmask_b32_e32 v0, v0, v8, vcc_lo
	v_ashrrev_i32_e32 v7, 31, v5
	v_add_nc_u32_e32 v8, 1, v6
	s_delay_alu instid0(VALU_DEP_3) | instskip(NEXT) | instid1(VALU_DEP_3)
	v_cmp_le_u32_e32 vcc_lo, s74, v0
	v_xor_b32_e32 v7, s75, v7
	s_delay_alu instid0(VALU_DEP_3) | instskip(SKIP_1) | instid1(VALU_DEP_2)
	v_cndmask_b32_e32 v0, v6, v8, vcc_lo
	v_mul_lo_u32 v6, v1, s60
	v_xor_b32_e32 v0, v0, v7
	s_delay_alu instid0(VALU_DEP_2) | instskip(NEXT) | instid1(VALU_DEP_2)
	v_sub_nc_u32_e32 v67, v2, v6
	v_sub_nc_u32_e32 v71, v0, v7
	v_mul_lo_u32 v7, v4, s47
	s_delay_alu instid0(VALU_DEP_2) | instskip(NEXT) | instid1(VALU_DEP_2)
	v_mul_lo_u32 v0, v71, s45
	v_sub_nc_u32_e32 v68, v1, v7
	s_delay_alu instid0(VALU_DEP_2) | instskip(SKIP_1) | instid1(VALU_DEP_2)
	v_sub_nc_u32_e32 v69, v5, v0
	v_mul_lo_u32 v5, v5, s46
	v_mul_lo_u32 v0, v69, s85
	s_delay_alu instid0(VALU_DEP_2) | instskip(NEXT) | instid1(VALU_DEP_2)
	v_sub_nc_u32_e32 v70, v4, v5
	v_add_nc_u32_e32 v8, s85, v0
	s_delay_alu instid0(VALU_DEP_1)
	v_cmpx_lt_i32_e64 v0, v8
	s_cbranch_execz .LBB23_2
; %bb.4:                                ;   in Loop: Header=BB23_3 Depth=1
	v_readlane_b32 s0, v130, 0
	v_readlane_b32 s1, v130, 1
	;; [unrolled: 1-line block ×4, first 2 shown]
	s_delay_alu instid0(VALU_DEP_4) | instskip(NEXT) | instid1(VALU_DEP_4)
	v_add_nc_u32_e32 v14, s0, v68
	v_add_nc_u32_e32 v7, s1, v67
	v_readlane_b32 s1, v130, 2
	s_delay_alu instid0(VALU_DEP_2) | instskip(SKIP_1) | instid1(VALU_DEP_3)
	v_add_nc_u32_e32 v5, -1, v7
	v_sub_nc_u32_e32 v1, 1, v7
	v_mul_lo_u32 v0, s1, v0
	s_delay_alu instid0(VALU_DEP_2) | instskip(NEXT) | instid1(VALU_DEP_1)
	v_max_i32_e32 v1, v5, v1
	v_mul_hi_u32 v4, v1, v66
	s_delay_alu instid0(VALU_DEP_1) | instskip(NEXT) | instid1(VALU_DEP_1)
	v_mul_lo_u32 v6, v4, s84
	v_sub_nc_u32_e32 v1, v1, v6
	v_add_nc_u32_e32 v6, 1, v4
	s_delay_alu instid0(VALU_DEP_2) | instskip(SKIP_1) | instid1(VALU_DEP_2)
	v_subrev_nc_u32_e32 v8, s84, v1
	v_cmp_le_u32_e32 vcc_lo, s84, v1
	v_dual_cndmask_b32 v4, v4, v6 :: v_dual_cndmask_b32 v1, v1, v8
	v_sub_nc_u32_e32 v9, 0, v7
	v_sub_nc_u32_e32 v10, 2, v7
	s_delay_alu instid0(VALU_DEP_3) | instskip(NEXT) | instid1(VALU_DEP_4)
	v_add_nc_u32_e32 v8, 1, v4
	v_cmp_le_u32_e32 vcc_lo, s84, v1
	v_ashrrev_i32_e32 v1, 31, v0
	v_max_i32_e32 v9, v7, v9
	s_delay_alu instid0(VALU_DEP_4) | instskip(SKIP_4) | instid1(VALU_DEP_4)
	v_cndmask_b32_e32 v4, v4, v8, vcc_lo
	v_add_nc_u32_e32 v8, -2, v7
	v_ashrrev_i32_e32 v6, 31, v5
	v_lshlrev_b64 v[0:1], 1, v[0:1]
	v_mul_hi_u32 v11, v9, v66
	v_max_i32_e32 v10, v8, v10
	s_delay_alu instid0(VALU_DEP_4) | instskip(NEXT) | instid1(VALU_DEP_4)
	v_xor_b32_e32 v6, s90, v6
	v_add_co_u32 v0, vcc_lo, s72, v0
	s_delay_alu instid0(VALU_DEP_3) | instskip(NEXT) | instid1(VALU_DEP_3)
	v_mul_hi_u32 v12, v10, v66
	v_xor_b32_e32 v4, v4, v6
	v_add_co_ci_u32_e32 v1, vcc_lo, s73, v1, vcc_lo
	v_mul_lo_u32 v13, v11, s84
	s_delay_alu instid0(VALU_DEP_3) | instskip(NEXT) | instid1(VALU_DEP_1)
	v_sub_nc_u32_e32 v4, v4, v6
	v_mul_lo_u32 v6, v4, s54
	v_cmp_gt_i32_e64 s43, s51, v4
	s_delay_alu instid0(VALU_DEP_2) | instskip(SKIP_3) | instid1(VALU_DEP_2)
	v_cmp_eq_u32_e32 vcc_lo, v6, v5
	v_mul_lo_u32 v5, v12, s84
	v_sub_nc_u32_e32 v6, v9, v13
	v_add_nc_u32_e32 v9, -1, v14
	v_cmp_le_u32_e64 s0, s84, v6
	s_delay_alu instid0(VALU_DEP_4) | instskip(SKIP_1) | instid1(VALU_DEP_1)
	v_sub_nc_u32_e32 v5, v10, v5
	v_sub_nc_u32_e32 v10, 1, v14
	v_max_i32_e32 v10, v9, v10
	s_delay_alu instid0(VALU_DEP_1) | instskip(NEXT) | instid1(VALU_DEP_1)
	v_mul_hi_u32 v13, v10, v65
	v_mul_lo_u32 v15, v13, s83
	s_delay_alu instid0(VALU_DEP_1) | instskip(SKIP_1) | instid1(VALU_DEP_1)
	v_sub_nc_u32_e32 v10, v10, v15
	v_subrev_nc_u32_e32 v15, s84, v6
	v_cndmask_b32_e64 v6, v6, v15, s0
	v_add_nc_u32_e32 v15, 1, v11
	s_delay_alu instid0(VALU_DEP_1) | instskip(SKIP_2) | instid1(VALU_DEP_1)
	v_cndmask_b32_e64 v11, v11, v15, s0
	v_subrev_nc_u32_e32 v15, s84, v5
	v_cmp_le_u32_e64 s0, s84, v5
	v_cndmask_b32_e64 v5, v5, v15, s0
	v_add_nc_u32_e32 v15, 1, v12
	s_delay_alu instid0(VALU_DEP_1) | instskip(SKIP_2) | instid1(VALU_DEP_1)
	v_cndmask_b32_e64 v12, v12, v15, s0
	v_subrev_nc_u32_e32 v15, s83, v10
	v_cmp_le_u32_e64 s0, s83, v10
	v_cndmask_b32_e64 v10, v10, v15, s0
	v_add_nc_u32_e32 v15, 1, v13
	s_delay_alu instid0(VALU_DEP_1) | instskip(SKIP_2) | instid1(VALU_DEP_1)
	v_cndmask_b32_e64 v13, v13, v15, s0
	v_add_nc_u32_e32 v15, 1, v11
	v_cmp_le_u32_e64 s0, s84, v6
	v_cndmask_b32_e64 v6, v11, v15, s0
	v_add_nc_u32_e32 v11, 1, v12
	v_cmp_le_u32_e64 s0, s84, v5
	s_delay_alu instid0(VALU_DEP_1) | instskip(SKIP_4) | instid1(VALU_DEP_4)
	v_cndmask_b32_e64 v5, v12, v11, s0
	v_ashrrev_i32_e32 v11, 31, v7
	v_cmp_le_u32_e64 s0, s83, v10
	v_sub_nc_u32_e32 v10, 0, v14
	v_ashrrev_i32_e32 v12, 31, v9
	v_xor_b32_e32 v11, s90, v11
	s_delay_alu instid0(VALU_DEP_3) | instskip(NEXT) | instid1(VALU_DEP_3)
	v_max_i32_e32 v10, v14, v10
	v_xor_b32_e32 v12, s89, v12
	s_delay_alu instid0(VALU_DEP_3) | instskip(NEXT) | instid1(VALU_DEP_1)
	v_xor_b32_e32 v6, v6, v11
	v_sub_nc_u32_e32 v6, v6, v11
	v_ashrrev_i32_e32 v11, 31, v8
	s_delay_alu instid0(VALU_DEP_2) | instskip(NEXT) | instid1(VALU_DEP_2)
	v_cmp_gt_i32_e64 s42, s51, v6
	v_xor_b32_e32 v11, s90, v11
	s_delay_alu instid0(VALU_DEP_1) | instskip(NEXT) | instid1(VALU_DEP_1)
	v_xor_b32_e32 v5, v5, v11
	v_sub_nc_u32_e32 v5, v5, v11
	v_mul_lo_u32 v11, v6, s54
	s_delay_alu instid0(VALU_DEP_2) | instskip(NEXT) | instid1(VALU_DEP_2)
	v_cmp_gt_i32_e64 s44, s51, v5
	v_cmp_eq_u32_e64 s3, v11, v7
	v_mul_lo_u32 v11, v5, s54
	v_add_nc_u32_e32 v7, 1, v13
	s_delay_alu instid0(VALU_DEP_1) | instskip(NEXT) | instid1(VALU_DEP_3)
	v_cndmask_b32_e64 v7, v13, v7, s0
	v_cmp_eq_u32_e64 s0, v11, v8
	v_mul_hi_u32 v8, v10, v65
	s_delay_alu instid0(VALU_DEP_3) | instskip(NEXT) | instid1(VALU_DEP_1)
	v_xor_b32_e32 v7, v7, v12
	v_sub_nc_u32_e32 v7, v7, v12
	s_delay_alu instid0(VALU_DEP_3) | instskip(NEXT) | instid1(VALU_DEP_2)
	v_mul_lo_u32 v11, v8, s83
	v_mul_lo_u32 v12, v7, s53
	v_cmp_gt_i32_e64 s34, s50, v7
	s_delay_alu instid0(VALU_DEP_3) | instskip(SKIP_1) | instid1(VALU_DEP_4)
	v_sub_nc_u32_e32 v10, v10, v11
	v_add_nc_u32_e32 v11, -2, v14
	v_cmp_eq_u32_e64 s12, v12, v9
	s_delay_alu instid0(VALU_DEP_3) | instskip(SKIP_2) | instid1(VALU_DEP_2)
	v_subrev_nc_u32_e32 v9, s83, v10
	v_sub_nc_u32_e32 v12, 2, v14
	v_cmp_le_u32_e64 s1, s83, v10
	v_max_i32_e32 v12, v11, v12
	s_delay_alu instid0(VALU_DEP_2) | instskip(SKIP_1) | instid1(VALU_DEP_1)
	v_cndmask_b32_e64 v9, v10, v9, s1
	v_add_nc_u32_e32 v10, 1, v8
	v_cndmask_b32_e64 v8, v8, v10, s1
	s_delay_alu instid0(VALU_DEP_4) | instskip(NEXT) | instid1(VALU_DEP_4)
	v_mul_hi_u32 v10, v12, v65
	v_cmp_le_u32_e64 s1, s83, v9
	s_delay_alu instid0(VALU_DEP_2) | instskip(NEXT) | instid1(VALU_DEP_1)
	v_mul_lo_u32 v13, v10, s83
	v_sub_nc_u32_e32 v12, v12, v13
	v_add_nc_u32_e32 v13, 1, v8
	s_delay_alu instid0(VALU_DEP_2) | instskip(NEXT) | instid1(VALU_DEP_2)
	v_subrev_nc_u32_e32 v9, s83, v12
	v_cndmask_b32_e64 v8, v8, v13, s1
	v_cmp_le_u32_e64 s1, s83, v12
	s_delay_alu instid0(VALU_DEP_1) | instskip(SKIP_1) | instid1(VALU_DEP_1)
	v_cndmask_b32_e64 v12, v12, v9, s1
	v_add_nc_u32_e32 v9, 1, v10
	v_cndmask_b32_e64 v10, v10, v9, s1
	v_ashrrev_i32_e32 v9, 31, v14
	s_delay_alu instid0(VALU_DEP_4) | instskip(SKIP_1) | instid1(VALU_DEP_3)
	v_cmp_le_u32_e64 s1, s83, v12
	v_ashrrev_i32_e32 v12, 31, v11
	v_xor_b32_e32 v9, s89, v9
	s_delay_alu instid0(VALU_DEP_1) | instskip(NEXT) | instid1(VALU_DEP_1)
	v_xor_b32_e32 v8, v8, v9
	v_sub_nc_u32_e32 v9, v8, v9
	v_add_nc_u32_e32 v8, 1, v10
	s_delay_alu instid0(VALU_DEP_2) | instskip(NEXT) | instid1(VALU_DEP_2)
	v_cmp_gt_i32_e64 s37, s50, v9
	v_cndmask_b32_e64 v8, v10, v8, s1
	v_xor_b32_e32 v10, s89, v12
	v_mul_lo_u32 v12, v9, s53
	s_delay_alu instid0(VALU_DEP_4) | instskip(SKIP_1) | instid1(VALU_DEP_2)
	s_and_b32 s91, s43, s37
	s_and_b32 s66, s44, s37
	v_xor_b32_e32 v8, v8, v10
	s_and_b32 s65, s42, s37
	s_delay_alu instid0(VALU_DEP_2) | instskip(NEXT) | instid1(VALU_DEP_2)
	v_cmp_eq_u32_e64 s21, v12, v14
	v_sub_nc_u32_e32 v8, v8, v10
	v_add_nc_u32_e32 v12, s55, v70
	s_delay_alu instid0(VALU_DEP_2) | instskip(NEXT) | instid1(VALU_DEP_2)
	v_mul_lo_u32 v10, v8, s53
	v_add_nc_u32_e32 v13, -1, v12
	v_cmp_gt_i32_e64 s29, s50, v8
	s_delay_alu instid0(VALU_DEP_3) | instskip(NEXT) | instid1(VALU_DEP_3)
	v_cmp_eq_u32_e64 s26, v10, v11
	v_sub_nc_u32_e32 v10, 0, v13
	s_delay_alu instid0(VALU_DEP_1) | instskip(NEXT) | instid1(VALU_DEP_1)
	v_max_i32_e32 v10, v13, v10
	v_mul_hi_u32 v11, v10, v64
	s_delay_alu instid0(VALU_DEP_1) | instskip(NEXT) | instid1(VALU_DEP_1)
	v_mul_lo_u32 v14, v11, s82
	v_sub_nc_u32_e32 v10, v10, v14
	s_delay_alu instid0(VALU_DEP_1) | instskip(SKIP_1) | instid1(VALU_DEP_1)
	v_subrev_nc_u32_e32 v14, s82, v10
	v_cmp_le_u32_e64 s1, s82, v10
	v_cndmask_b32_e64 v10, v10, v14, s1
	v_add_nc_u32_e32 v14, 1, v11
	s_delay_alu instid0(VALU_DEP_1) | instskip(NEXT) | instid1(VALU_DEP_3)
	v_cndmask_b32_e64 v11, v11, v14, s1
	v_cmp_le_u32_e64 s1, s82, v10
	s_delay_alu instid0(VALU_DEP_2) | instskip(NEXT) | instid1(VALU_DEP_1)
	v_add_nc_u32_e32 v14, 1, v11
	v_cndmask_b32_e64 v10, v11, v14, s1
	v_ashrrev_i32_e32 v11, 31, v13
	s_delay_alu instid0(VALU_DEP_1) | instskip(NEXT) | instid1(VALU_DEP_1)
	v_xor_b32_e32 v11, s88, v11
	v_xor_b32_e32 v10, v10, v11
	s_delay_alu instid0(VALU_DEP_1) | instskip(NEXT) | instid1(VALU_DEP_1)
	v_sub_nc_u32_e32 v10, v10, v11
	v_mul_lo_u32 v11, v10, s52
	v_cmp_gt_i32_e64 s38, s49, v10
	s_delay_alu instid0(VALU_DEP_2) | instskip(SKIP_1) | instid1(VALU_DEP_1)
	v_cmp_eq_u32_e64 s18, v11, v13
	v_sub_nc_u32_e32 v11, 0, v12
	v_max_i32_e32 v11, v12, v11
	s_delay_alu instid0(VALU_DEP_1) | instskip(NEXT) | instid1(VALU_DEP_1)
	v_mul_hi_u32 v13, v11, v64
	v_mul_lo_u32 v14, v13, s82
	s_delay_alu instid0(VALU_DEP_1) | instskip(NEXT) | instid1(VALU_DEP_1)
	v_sub_nc_u32_e32 v11, v11, v14
	v_subrev_nc_u32_e32 v14, s82, v11
	v_cmp_le_u32_e64 s1, s82, v11
	s_delay_alu instid0(VALU_DEP_1) | instskip(SKIP_1) | instid1(VALU_DEP_1)
	v_cndmask_b32_e64 v11, v11, v14, s1
	v_add_nc_u32_e32 v14, 1, v13
	v_cndmask_b32_e64 v13, v13, v14, s1
	s_delay_alu instid0(VALU_DEP_3) | instskip(NEXT) | instid1(VALU_DEP_2)
	v_cmp_le_u32_e64 s1, s82, v11
	v_add_nc_u32_e32 v14, 1, v13
	s_delay_alu instid0(VALU_DEP_1) | instskip(SKIP_1) | instid1(VALU_DEP_1)
	v_cndmask_b32_e64 v11, v13, v14, s1
	v_ashrrev_i32_e32 v13, 31, v12
	v_xor_b32_e32 v13, s88, v13
	s_delay_alu instid0(VALU_DEP_1) | instskip(NEXT) | instid1(VALU_DEP_1)
	v_xor_b32_e32 v11, v11, v13
	v_sub_nc_u32_e32 v13, v11, v13
	s_delay_alu instid0(VALU_DEP_1) | instskip(SKIP_1) | instid1(VALU_DEP_2)
	v_mul_lo_u32 v11, v13, s52
	v_cmp_gt_i32_e64 s36, s49, v13
	v_cmp_eq_u32_e64 s8, v11, v12
	v_add_nc_u32_e32 v11, -2, v12
	s_delay_alu instid0(VALU_DEP_2) | instskip(NEXT) | instid1(VALU_DEP_1)
	s_and_b32 s64, s8, s21
	v_sub_nc_u32_e32 v12, 0, v11
	s_delay_alu instid0(VALU_DEP_1) | instskip(NEXT) | instid1(VALU_DEP_1)
	v_max_i32_e32 v12, v11, v12
	v_mul_hi_u32 v14, v12, v64
	s_delay_alu instid0(VALU_DEP_1) | instskip(NEXT) | instid1(VALU_DEP_1)
	v_mul_lo_u32 v15, v14, s82
	v_sub_nc_u32_e32 v12, v12, v15
	s_delay_alu instid0(VALU_DEP_1) | instskip(SKIP_1) | instid1(VALU_DEP_1)
	v_subrev_nc_u32_e32 v15, s82, v12
	v_cmp_le_u32_e64 s1, s82, v12
	v_cndmask_b32_e64 v12, v12, v15, s1
	v_add_nc_u32_e32 v15, 1, v14
	s_delay_alu instid0(VALU_DEP_1) | instskip(NEXT) | instid1(VALU_DEP_3)
	v_cndmask_b32_e64 v14, v14, v15, s1
	v_cmp_le_u32_e64 s1, s82, v12
	s_delay_alu instid0(VALU_DEP_2) | instskip(NEXT) | instid1(VALU_DEP_1)
	v_add_nc_u32_e32 v15, 1, v14
	v_cndmask_b32_e64 v12, v14, v15, s1
	v_ashrrev_i32_e32 v14, 31, v11
	s_delay_alu instid0(VALU_DEP_1) | instskip(NEXT) | instid1(VALU_DEP_1)
	v_xor_b32_e32 v14, s88, v14
	v_xor_b32_e32 v12, v12, v14
	s_delay_alu instid0(VALU_DEP_1) | instskip(NEXT) | instid1(VALU_DEP_1)
	v_sub_nc_u32_e32 v14, v12, v14
	v_mul_lo_u32 v12, v14, s52
	v_cmp_gt_i32_e64 s28, s49, v14
	s_delay_alu instid0(VALU_DEP_2) | instskip(SKIP_1) | instid1(VALU_DEP_1)
	v_cmp_eq_u32_e64 s27, v12, v11
	v_mul_lo_u32 v11, s68, v71
	v_ashrrev_i32_e32 v12, 31, v11
	s_delay_alu instid0(VALU_DEP_1) | instskip(NEXT) | instid1(VALU_DEP_1)
	v_lshlrev_b64 v[11:12], 1, v[11:12]
	v_add_co_u32 v72, s1, s4, v11
	v_or_b32_e32 v11, v6, v9
	s_delay_alu instid0(VALU_DEP_3) | instskip(NEXT) | instid1(VALU_DEP_2)
	v_add_co_ci_u32_e64 v73, s1, s5, v12, s1
	v_or_b32_e32 v12, v11, v13
	s_delay_alu instid0(VALU_DEP_1) | instskip(SKIP_1) | instid1(VALU_DEP_2)
	v_cmp_lt_i32_e64 s1, -1, v12
	v_or_b32_e32 v12, v4, v9
	s_and_b32 s1, s42, s1
	s_delay_alu instid0(VALU_DEP_1) | instskip(SKIP_1) | instid1(SALU_CYCLE_1)
	v_or_b32_e32 v15, v12, v13
	s_and_b32 s1, s1, s37
	s_and_b32 s93, s1, s36
	s_delay_alu instid0(VALU_DEP_1) | instskip(SKIP_1) | instid1(VALU_DEP_2)
	v_cmp_lt_i32_e64 s2, -1, v15
	v_or_b32_e32 v15, v5, v9
	s_and_b32 s1, s43, s2
	s_delay_alu instid0(VALU_DEP_1) | instskip(SKIP_3) | instid1(VALU_DEP_1)
	v_or_b32_e32 v16, v15, v13
	s_and_b32 s2, s1, s37
	s_and_b32 s1, s64, s3
	;; [unrolled: 1-line block ×3, first 2 shown]
	v_cmp_lt_i32_e64 s4, -1, v16
	v_or_b32_e32 v16, v6, v7
	s_delay_alu instid0(VALU_DEP_2) | instskip(NEXT) | instid1(VALU_DEP_1)
	s_and_b32 s2, s44, s4
	v_or_b32_e32 v17, v16, v13
	s_and_b32 s4, s2, s37
	s_and_b32 s2, s64, vcc_lo
	s_and_b32 s95, s4, s36
	s_and_b32 s4, s64, s0
	v_cmp_lt_i32_e64 s5, -1, v17
	v_or_b32_e32 v17, v4, v7
	s_and_b32 s64, s8, s12
	s_delay_alu instid0(VALU_DEP_2) | instskip(NEXT) | instid1(VALU_DEP_1)
	s_and_b32 s5, s42, s5
	v_or_b32_e32 v18, v17, v13
	s_and_b32 s5, s5, s34
	s_delay_alu instid0(SALU_CYCLE_1) | instskip(NEXT) | instid1(VALU_DEP_1)
	s_and_b32 s96, s5, s36
	v_cmp_lt_i32_e64 s6, -1, v18
	v_or_b32_e32 v18, v5, v7
	s_delay_alu instid0(VALU_DEP_2) | instskip(NEXT) | instid1(VALU_DEP_1)
	s_and_b32 s5, s43, s6
	v_or_b32_e32 v19, v18, v13
	s_and_b32 s6, s5, s34
	s_and_b32 s5, s64, s3
	s_and_b32 s97, s6, s36
	s_delay_alu instid0(VALU_DEP_1) | instskip(SKIP_1) | instid1(VALU_DEP_2)
	v_cmp_lt_i32_e64 s7, -1, v19
	v_or_b32_e32 v19, v6, v8
	s_and_b32 s6, s44, s7
	s_delay_alu instid0(VALU_DEP_1)
	v_or_b32_e32 v20, v19, v13
	s_and_b32 s7, s6, s34
	s_and_b32 s6, s64, vcc_lo
	s_and_b32 s98, s7, s36
	s_and_b32 s7, s64, s0
	v_cmp_lt_i32_e64 s9, -1, v20
	v_or_b32_e32 v20, v4, v8
	s_and_b32 s64, s8, s26
	s_delay_alu instid0(VALU_DEP_2) | instskip(NEXT) | instid1(VALU_DEP_1)
	s_and_b32 s9, s42, s9
	v_or_b32_e32 v21, v20, v13
	s_and_b32 s9, s9, s29
	s_delay_alu instid0(SALU_CYCLE_1) | instskip(NEXT) | instid1(VALU_DEP_1)
	s_and_b32 s99, s9, s36
	v_cmp_lt_i32_e64 s10, -1, v21
	v_or_b32_e32 v21, v5, v8
	s_delay_alu instid0(VALU_DEP_2) | instskip(NEXT) | instid1(VALU_DEP_1)
	s_and_b32 s8, s43, s10
	v_or_b32_e32 v22, v21, v13
	s_and_b32 s9, s8, s29
	s_and_b32 s8, s64, s3
	s_and_b32 s100, s9, s36
	s_delay_alu instid0(VALU_DEP_1) | instskip(SKIP_2) | instid1(VALU_DEP_3)
	v_cmp_lt_i32_e64 s35, -1, v22
	v_or_b32_e32 v22, v11, v10
	v_or_b32_e32 v11, v11, v14
	s_and_b32 s9, s44, s35
	s_delay_alu instid0(VALU_DEP_2) | instskip(SKIP_1) | instid1(VALU_DEP_3)
	v_cmp_lt_i32_e64 s31, -1, v22
	v_or_b32_e32 v22, v12, v10
	v_cmp_lt_i32_e64 s22, -1, v11
	v_or_b32_e32 v11, v12, v14
	v_or_b32_e32 v12, v19, v14
	s_and_b32 s10, s9, s29
	v_cmp_lt_i32_e64 s11, -1, v22
	v_or_b32_e32 v22, v15, v10
	v_cmp_lt_i32_e64 s23, -1, v11
	v_or_b32_e32 v11, v15, v14
	v_or_b32_e32 v15, v21, v14
	s_and_b32 s9, s64, vcc_lo
	v_cmp_lt_i32_e64 s13, -1, v22
	v_or_b32_e32 v22, v16, v10
	v_cmp_lt_i32_e64 s24, -1, v11
	v_or_b32_e32 v11, v16, v14
	s_and_b32 s35, s10, s36
	s_and_b32 s10, s64, s0
	v_cmp_lt_i32_e64 s14, -1, v22
	v_or_b32_e32 v22, v17, v10
	v_cmp_lt_i32_e64 s25, -1, v11
	v_or_b32_e32 v11, v17, v14
	s_and_b32 s64, s18, s21
	s_and_b32 s67, s42, s14
	;; [unrolled: 6-line block ×3, first 2 shown]
	v_cmp_lt_i32_e64 s16, -1, v22
	v_or_b32_e32 v22, v19, v10
	v_cmp_lt_i32_e64 s33, -1, v11
	v_mul_lo_u32 v11, v13, s50
	v_or_b32_e32 v13, v20, v14
	v_mul_lo_u32 v14, v14, s50
	v_cmp_lt_i32_e64 s17, -1, v22
	v_or_b32_e32 v22, v20, v10
	s_and_b32 s37, s66, s13
	s_and_b32 s13, s64, vcc_lo
	s_and_b32 s14, s64, s0
	v_add_nc_u32_e32 v16, v9, v11
	v_cmp_lt_i32_e64 s20, -1, v22
	v_or_b32_e32 v22, v21, v10
	v_mul_lo_u32 v10, v10, s50
	v_add_nc_u32_e32 v17, v7, v11
	v_add_nc_u32_e32 v18, v8, v11
	;; [unrolled: 1-line block ×5, first 2 shown]
	v_mul_lo_u32 v11, v16, s51
	v_mul_lo_u32 v17, v17, s51
	v_add_nc_u32_e32 v23, v9, v10
	v_add_nc_u32_e32 v29, v7, v10
	;; [unrolled: 1-line block ×3, first 2 shown]
	v_mul_lo_u32 v24, v18, s51
	v_mul_lo_u32 v48, v41, s51
	;; [unrolled: 1-line block ×7, first 2 shown]
	s_and_b32 s64, s67, s34
	s_and_b32 s15, s43, s15
	;; [unrolled: 1-line block ×8, first 2 shown]
	v_cmp_lt_i32_e64 s19, -1, v22
	v_cmp_lt_i32_e64 s40, -1, v13
	;; [unrolled: 1-line block ×3, first 2 shown]
	v_add_nc_u32_e32 v7, v6, v11
	v_add_nc_u32_e32 v9, v4, v11
	;; [unrolled: 1-line block ×12, first 2 shown]
	s_and_b32 s67, s18, s12
	v_add_nc_u32_e32 v31, v6, v36
	v_add_nc_u32_e32 v33, v4, v36
	s_and_b32 s103, s64, s38
	v_add_nc_u32_e32 v35, v5, v36
	s_and_b32 s64, s42, s17
	v_add_nc_u32_e32 v37, v6, v42
	v_add_nc_u32_e32 v39, v4, v42
	;; [unrolled: 1-line block ×3, first 2 shown]
	s_and_b32 s77, s22, s28
	v_add_nc_u32_e32 v43, v6, v48
	s_and_b32 s22, s91, s23
	v_add_nc_u32_e32 v45, v4, v48
	;; [unrolled: 2-line block ×4, first 2 shown]
	v_add_nc_u32_e32 v51, v4, v54
	v_add_nc_u32_e32 v53, v5, v54
	;; [unrolled: 1-line block ×4, first 2 shown]
	s_and_b32 s31, s65, s31
	s_and_b32 s15, s67, s3
	s_and_b32 s16, s67, vcc_lo
	s_and_b32 s17, s67, s0
	s_and_b32 s64, s64, s29
	;; [unrolled: 1-line block ×8, first 2 shown]
	v_add_nc_u32_e32 v74, v5, v58
	v_cmp_lt_i32_e64 s39, -1, v12
	s_and_b32 s104, s64, s38
	s_and_b32 s20, s18, s29
	s_and_b32 s19, s44, s19
	s_and_b32 s21, s65, s3
	s_and_b32 s91, s22, s28
	s_and_b32 s22, s65, vcc_lo
	s_and_b32 s64, s23, s28
	s_and_b32 s23, s65, s0
	s_and_b32 s65, s24, s28
	s_and_b32 s24, s12, s34
	v_ashrrev_i32_e32 v8, 31, v7
	v_ashrrev_i32_e32 v10, 31, v9
	;; [unrolled: 1-line block ×26, first 2 shown]
	s_and_b32 vcc_hi, s20, s38
	s_and_b32 s20, s19, s29
	s_and_b32 s30, s24, s28
	;; [unrolled: 1-line block ×4, first 2 shown]
	v_ashrrev_i32_e32 v75, 31, v74
	s_and_b32 s31, s31, s38
	s_and_b32 s36, s36, s38
	;; [unrolled: 1-line block ×4, first 2 shown]
	s_and_b32 s19, s67, vcc_lo
	s_and_b32 s38, s20, s38
	s_and_b32 s20, s67, s0
	;; [unrolled: 1-line block ×4, first 2 shown]
	s_and_b32 s24, s25, vcc_lo
	s_and_b32 s34, s42, s39
	s_and_b32 s25, s25, s0
	;; [unrolled: 1-line block ×3, first 2 shown]
	s_and_b32 vcc_lo, s26, vcc_lo
	s_and_b32 s0, s26, s0
	s_mul_i32 s26, s69, s85
	s_and_b32 s34, s34, s29
	v_lshlrev_b64 v[4:5], 1, v[7:8]
	v_lshlrev_b64 v[6:7], 1, v[9:10]
	;; [unrolled: 1-line block ×26, first 2 shown]
	v_mul_lo_u32 v58, s26, v69
	s_and_b32 s27, s34, s28
	s_and_b32 s34, s43, s40
	;; [unrolled: 1-line block ×3, first 2 shown]
	v_lshlrev_b64 v[56:57], 1, v[74:75]
	v_mov_b32_e32 v74, 0
	s_and_b32 s34, s34, s29
	s_and_b32 s29, s39, s29
	;; [unrolled: 1-line block ×5, first 2 shown]
	s_mov_b32 s29, s85
	s_branch .LBB23_6
.LBB23_5:                               ;   in Loop: Header=BB23_6 Depth=2
	s_or_b32 exec_lo, exec_lo, s39
	s_waitcnt vmcnt(26)
	v_fma_mix_f32 v59, v59, v75, v74 op_sel_hi:[0,1,0]
	v_add_co_u32 v0, s26, v0, 54
	s_delay_alu instid0(VALU_DEP_1) | instskip(NEXT) | instid1(VALU_DEP_3)
	v_add_co_ci_u32_e64 v1, s26, 0, v1, s26
	v_cndmask_b32_e64 v59, v74, v59, s1
	v_add_nc_u32_e32 v58, s69, v58
	s_add_i32 s29, s29, -1
	s_delay_alu instid0(SALU_CYCLE_1) | instskip(SKIP_2) | instid1(VALU_DEP_1)
	s_cmp_eq_u32 s29, 0
	s_waitcnt vmcnt(25)
	v_fma_mix_f32 v74, v80, v78, v59 op_sel_hi:[0,1,0]
	v_cndmask_b32_e64 v59, v59, v74, s2
	s_waitcnt vmcnt(24)
	s_delay_alu instid0(VALU_DEP_1) | instskip(NEXT) | instid1(VALU_DEP_1)
	v_fma_mix_f32 v74, v79, v81, v59 op_sel_hi:[0,1,0]
	v_cndmask_b32_e64 v59, v59, v74, s4
	s_waitcnt vmcnt(23)
	s_delay_alu instid0(VALU_DEP_1) | instskip(NEXT) | instid1(VALU_DEP_1)
	v_fma_mix_f32 v74, v84, v82, v59 op_sel_hi:[0,1,0]
	v_cndmask_b32_e64 v59, v59, v74, s5
	s_waitcnt vmcnt(22)
	s_delay_alu instid0(VALU_DEP_1) | instskip(NEXT) | instid1(VALU_DEP_1)
	v_fma_mix_f32 v74, v83, v85, v59 op_sel_hi:[0,1,0]
	v_cndmask_b32_e64 v59, v59, v74, s6
	s_waitcnt vmcnt(21)
	s_delay_alu instid0(VALU_DEP_1) | instskip(NEXT) | instid1(VALU_DEP_1)
	v_fma_mix_f32 v74, v88, v86, v59 op_sel_hi:[0,1,0]
	v_cndmask_b32_e64 v59, v59, v74, s7
	s_waitcnt vmcnt(20)
	s_delay_alu instid0(VALU_DEP_1) | instskip(NEXT) | instid1(VALU_DEP_1)
	v_fma_mix_f32 v74, v87, v89, v59 op_sel_hi:[0,1,0]
	v_cndmask_b32_e64 v59, v59, v74, s8
	s_waitcnt vmcnt(19)
	s_delay_alu instid0(VALU_DEP_1) | instskip(NEXT) | instid1(VALU_DEP_1)
	v_fma_mix_f32 v74, v92, v90, v59 op_sel_hi:[0,1,0]
	v_cndmask_b32_e64 v59, v59, v74, s9
	s_waitcnt vmcnt(18)
	s_delay_alu instid0(VALU_DEP_1) | instskip(NEXT) | instid1(VALU_DEP_1)
	v_fma_mix_f32 v74, v91, v93, v59 op_sel_hi:[0,1,0]
	v_cndmask_b32_e64 v59, v59, v74, s10
	s_waitcnt vmcnt(17)
	s_delay_alu instid0(VALU_DEP_1) | instskip(NEXT) | instid1(VALU_DEP_1)
	v_fma_mix_f32 v74, v96, v94, v59 op_sel_hi:[0,1,0]
	v_cndmask_b32_e64 v59, v59, v74, s11
	s_waitcnt vmcnt(16)
	s_delay_alu instid0(VALU_DEP_1) | instskip(NEXT) | instid1(VALU_DEP_1)
	v_fma_mix_f32 v74, v95, v97, v59 op_sel_hi:[0,1,0]
	v_cndmask_b32_e64 v59, v59, v74, s13
	s_waitcnt vmcnt(15)
	s_delay_alu instid0(VALU_DEP_1) | instskip(NEXT) | instid1(VALU_DEP_1)
	v_fma_mix_f32 v74, v100, v98, v59 op_sel_hi:[0,1,0]
	v_cndmask_b32_e64 v59, v59, v74, s14
	s_waitcnt vmcnt(14)
	s_delay_alu instid0(VALU_DEP_1) | instskip(NEXT) | instid1(VALU_DEP_1)
	v_fma_mix_f32 v74, v99, v101, v59 op_sel_hi:[0,1,0]
	v_cndmask_b32_e64 v59, v59, v74, s15
	s_waitcnt vmcnt(13)
	s_delay_alu instid0(VALU_DEP_1) | instskip(NEXT) | instid1(VALU_DEP_1)
	v_fma_mix_f32 v74, v104, v102, v59 op_sel_hi:[0,1,0]
	v_cndmask_b32_e64 v59, v59, v74, s16
	s_waitcnt vmcnt(12)
	s_delay_alu instid0(VALU_DEP_1) | instskip(NEXT) | instid1(VALU_DEP_1)
	v_fma_mix_f32 v74, v103, v105, v59 op_sel_hi:[0,1,0]
	v_cndmask_b32_e64 v59, v59, v74, s17
	s_waitcnt vmcnt(11)
	s_delay_alu instid0(VALU_DEP_1) | instskip(NEXT) | instid1(VALU_DEP_1)
	v_fma_mix_f32 v74, v108, v106, v59 op_sel_hi:[0,1,0]
	v_cndmask_b32_e64 v59, v59, v74, s18
	s_waitcnt vmcnt(10)
	s_delay_alu instid0(VALU_DEP_1) | instskip(NEXT) | instid1(VALU_DEP_1)
	v_fma_mix_f32 v74, v107, v109, v59 op_sel_hi:[0,1,0]
	v_cndmask_b32_e64 v59, v59, v74, s19
	s_waitcnt vmcnt(9)
	s_delay_alu instid0(VALU_DEP_1) | instskip(NEXT) | instid1(VALU_DEP_1)
	v_fma_mix_f32 v74, v112, v110, v59 op_sel_hi:[0,1,0]
	v_cndmask_b32_e64 v59, v59, v74, s20
	s_waitcnt vmcnt(8)
	s_delay_alu instid0(VALU_DEP_1) | instskip(NEXT) | instid1(VALU_DEP_1)
	v_fma_mix_f32 v74, v111, v113, v59 op_sel_hi:[0,1,0]
	v_cndmask_b32_e64 v59, v59, v74, s21
	s_waitcnt vmcnt(7)
	s_delay_alu instid0(VALU_DEP_1) | instskip(NEXT) | instid1(VALU_DEP_1)
	v_fma_mix_f32 v74, v116, v114, v59 op_sel_hi:[0,1,0]
	v_cndmask_b32_e64 v59, v59, v74, s22
	s_waitcnt vmcnt(6)
	s_delay_alu instid0(VALU_DEP_1) | instskip(NEXT) | instid1(VALU_DEP_1)
	v_fma_mix_f32 v74, v115, v117, v59 op_sel_hi:[0,1,0]
	v_cndmask_b32_e64 v59, v59, v74, s23
	s_waitcnt vmcnt(5)
	s_delay_alu instid0(VALU_DEP_1) | instskip(NEXT) | instid1(VALU_DEP_1)
	v_fma_mix_f32 v74, v120, v118, v59 op_sel_hi:[0,1,0]
	v_cndmask_b32_e64 v59, v59, v74, s12
	s_waitcnt vmcnt(4)
	s_delay_alu instid0(VALU_DEP_1) | instskip(NEXT) | instid1(VALU_DEP_1)
	v_fma_mix_f32 v74, v119, v121, v59 op_sel_hi:[0,1,0]
	v_cndmask_b32_e64 v59, v59, v74, s24
	s_waitcnt vmcnt(3)
	s_delay_alu instid0(VALU_DEP_1) | instskip(NEXT) | instid1(VALU_DEP_1)
	v_fma_mix_f32 v74, v124, v122, v59 op_sel_hi:[0,1,0]
	v_cndmask_b32_e64 v59, v59, v74, s25
	s_waitcnt vmcnt(2)
	s_delay_alu instid0(VALU_DEP_1) | instskip(NEXT) | instid1(VALU_DEP_1)
	v_fma_mix_f32 v74, v123, v125, v59 op_sel_hi:[0,1,0]
	v_cndmask_b32_e64 v59, v59, v74, s3
	s_waitcnt vmcnt(1)
	s_delay_alu instid0(VALU_DEP_1) | instskip(NEXT) | instid1(VALU_DEP_1)
	v_fma_mix_f32 v74, v128, v126, v59 op_sel_hi:[0,1,0]
	v_cndmask_b32_e32 v59, v59, v74, vcc_lo
	s_waitcnt vmcnt(0)
	s_delay_alu instid0(VALU_DEP_1) | instskip(NEXT) | instid1(VALU_DEP_1)
	v_fma_mix_f32 v74, v127, v129, v59 op_sel_hi:[0,1,0]
	v_cndmask_b32_e64 v74, v59, v74, s0
	s_cbranch_scc1 .LBB23_2
.LBB23_6:                               ;   Parent Loop BB23_3 Depth=1
                                        ; =>  This Inner Loop Header: Depth=2
	global_load_u16 v75, v[0:1], off
	v_ashrrev_i32_e32 v59, 31, v58
	s_delay_alu instid0(VALU_DEP_1) | instskip(SKIP_1) | instid1(VALU_DEP_2)
	v_lshlrev_b64 v[76:77], 1, v[58:59]
	v_mov_b32_e32 v59, 0
	v_add_co_u32 v76, s26, v72, v76
	s_delay_alu instid0(VALU_DEP_1)
	v_add_co_ci_u32_e64 v77, s26, v73, v77, s26
	s_and_saveexec_b32 s39, s93
	s_cbranch_execz .LBB23_8
; %bb.7:                                ;   in Loop: Header=BB23_6 Depth=2
	s_delay_alu instid0(VALU_DEP_2) | instskip(NEXT) | instid1(VALU_DEP_1)
	v_add_co_u32 v78, s26, v76, v4
	v_add_co_ci_u32_e64 v79, s26, v77, v5, s26
	global_load_u16 v59, v[78:79], off
	s_waitcnt vmcnt(0)
	v_cvt_f32_f16_e32 v59, v59
.LBB23_8:                               ;   in Loop: Header=BB23_6 Depth=2
	s_or_b32 exec_lo, exec_lo, s39
	global_load_u16 v78, v[0:1], off offset:2
	v_dual_mov_b32 v79, 0 :: v_dual_mov_b32 v80, 0
	s_and_saveexec_b32 s39, s94
	s_cbranch_execz .LBB23_10
; %bb.9:                                ;   in Loop: Header=BB23_6 Depth=2
	v_add_co_u32 v80, s26, v76, v6
	s_delay_alu instid0(VALU_DEP_1)
	v_add_co_ci_u32_e64 v81, s26, v77, v7, s26
	global_load_u16 v80, v[80:81], off
	s_waitcnt vmcnt(0)
	v_cvt_f32_f16_e32 v80, v80
.LBB23_10:                              ;   in Loop: Header=BB23_6 Depth=2
	s_or_b32 exec_lo, exec_lo, s39
	global_load_u16 v81, v[0:1], off offset:4
	s_and_saveexec_b32 s39, s95
	s_cbranch_execz .LBB23_12
; %bb.11:                               ;   in Loop: Header=BB23_6 Depth=2
	v_add_co_u32 v82, s26, v76, v8
	s_delay_alu instid0(VALU_DEP_1)
	v_add_co_ci_u32_e64 v83, s26, v77, v9, s26
	global_load_u16 v79, v[82:83], off
	s_waitcnt vmcnt(0)
	v_cvt_f32_f16_e32 v79, v79
.LBB23_12:                              ;   in Loop: Header=BB23_6 Depth=2
	s_or_b32 exec_lo, exec_lo, s39
	global_load_u16 v82, v[0:1], off offset:6
	v_dual_mov_b32 v83, 0 :: v_dual_mov_b32 v84, 0
	s_and_saveexec_b32 s39, s96
	s_cbranch_execz .LBB23_14
; %bb.13:                               ;   in Loop: Header=BB23_6 Depth=2
	v_add_co_u32 v84, s26, v76, v10
	s_delay_alu instid0(VALU_DEP_1)
	v_add_co_ci_u32_e64 v85, s26, v77, v11, s26
	global_load_u16 v84, v[84:85], off
	s_waitcnt vmcnt(0)
	v_cvt_f32_f16_e32 v84, v84
.LBB23_14:                              ;   in Loop: Header=BB23_6 Depth=2
	s_or_b32 exec_lo, exec_lo, s39
	global_load_u16 v85, v[0:1], off offset:8
	s_and_saveexec_b32 s39, s97
	s_cbranch_execz .LBB23_16
; %bb.15:                               ;   in Loop: Header=BB23_6 Depth=2
	v_add_co_u32 v86, s26, v76, v12
	s_delay_alu instid0(VALU_DEP_1)
	v_add_co_ci_u32_e64 v87, s26, v77, v13, s26
	global_load_u16 v83, v[86:87], off
	s_waitcnt vmcnt(0)
	v_cvt_f32_f16_e32 v83, v83
.LBB23_16:                              ;   in Loop: Header=BB23_6 Depth=2
	s_or_b32 exec_lo, exec_lo, s39
	global_load_u16 v86, v[0:1], off offset:10
	v_dual_mov_b32 v87, 0 :: v_dual_mov_b32 v88, 0
	s_and_saveexec_b32 s39, s98
	s_cbranch_execz .LBB23_18
; %bb.17:                               ;   in Loop: Header=BB23_6 Depth=2
	v_add_co_u32 v88, s26, v76, v14
	s_delay_alu instid0(VALU_DEP_1)
	v_add_co_ci_u32_e64 v89, s26, v77, v15, s26
	global_load_u16 v88, v[88:89], off
	s_waitcnt vmcnt(0)
	v_cvt_f32_f16_e32 v88, v88
.LBB23_18:                              ;   in Loop: Header=BB23_6 Depth=2
	;; [unrolled: 25-line block ×7, first 2 shown]
	s_or_b32 exec_lo, exec_lo, s39
	global_load_u16 v109, v[0:1], off offset:32
	s_and_saveexec_b32 s39, vcc_hi
	s_cbranch_execz .LBB23_40
; %bb.39:                               ;   in Loop: Header=BB23_6 Depth=2
	v_add_co_u32 v110, s26, v76, v36
	s_delay_alu instid0(VALU_DEP_1)
	v_add_co_ci_u32_e64 v111, s26, v77, v37, s26
	global_load_u16 v107, v[110:111], off
	s_waitcnt vmcnt(0)
	v_cvt_f32_f16_e32 v107, v107
.LBB23_40:                              ;   in Loop: Header=BB23_6 Depth=2
	s_or_b32 exec_lo, exec_lo, s39
	global_load_u16 v110, v[0:1], off offset:34
	v_dual_mov_b32 v111, 0 :: v_dual_mov_b32 v112, 0
	s_and_saveexec_b32 s39, s38
	s_cbranch_execz .LBB23_42
; %bb.41:                               ;   in Loop: Header=BB23_6 Depth=2
	v_add_co_u32 v112, s26, v76, v38
	s_delay_alu instid0(VALU_DEP_1)
	v_add_co_ci_u32_e64 v113, s26, v77, v39, s26
	global_load_u16 v112, v[112:113], off
	s_waitcnt vmcnt(0)
	v_cvt_f32_f16_e32 v112, v112
.LBB23_42:                              ;   in Loop: Header=BB23_6 Depth=2
	s_or_b32 exec_lo, exec_lo, s39
	global_load_u16 v113, v[0:1], off offset:36
	s_and_saveexec_b32 s39, s77
	s_cbranch_execz .LBB23_44
; %bb.43:                               ;   in Loop: Header=BB23_6 Depth=2
	v_add_co_u32 v114, s26, v76, v40
	s_delay_alu instid0(VALU_DEP_1)
	v_add_co_ci_u32_e64 v115, s26, v77, v41, s26
	global_load_u16 v111, v[114:115], off
	s_waitcnt vmcnt(0)
	v_cvt_f32_f16_e32 v111, v111
.LBB23_44:                              ;   in Loop: Header=BB23_6 Depth=2
	s_or_b32 exec_lo, exec_lo, s39
	global_load_u16 v114, v[0:1], off offset:38
	v_dual_mov_b32 v115, 0 :: v_dual_mov_b32 v116, 0
	s_and_saveexec_b32 s39, s91
	s_cbranch_execz .LBB23_46
; %bb.45:                               ;   in Loop: Header=BB23_6 Depth=2
	v_add_co_u32 v116, s26, v76, v42
	s_delay_alu instid0(VALU_DEP_1)
	v_add_co_ci_u32_e64 v117, s26, v77, v43, s26
	global_load_u16 v116, v[116:117], off
	s_waitcnt vmcnt(0)
	v_cvt_f32_f16_e32 v116, v116
.LBB23_46:                              ;   in Loop: Header=BB23_6 Depth=2
	s_or_b32 exec_lo, exec_lo, s39
	global_load_u16 v117, v[0:1], off offset:40
	s_and_saveexec_b32 s39, s64
	;; [unrolled: 25-line block ×4, first 2 shown]
	s_cbranch_execz .LBB23_56
; %bb.55:                               ;   in Loop: Header=BB23_6 Depth=2
	v_add_co_u32 v126, s26, v76, v52
	s_delay_alu instid0(VALU_DEP_1)
	v_add_co_ci_u32_e64 v127, s26, v77, v53, s26
	global_load_u16 v123, v[126:127], off
	s_waitcnt vmcnt(0)
	v_cvt_f32_f16_e32 v123, v123
.LBB23_56:                              ;   in Loop: Header=BB23_6 Depth=2
	s_or_b32 exec_lo, exec_lo, s39
	global_load_u16 v126, v[0:1], off offset:50
	v_dual_mov_b32 v127, 0 :: v_dual_mov_b32 v128, 0
	s_and_saveexec_b32 s39, s34
	s_cbranch_execz .LBB23_58
; %bb.57:                               ;   in Loop: Header=BB23_6 Depth=2
	v_add_co_u32 v128, s26, v76, v54
	s_delay_alu instid0(VALU_DEP_1)
	v_add_co_ci_u32_e64 v129, s26, v77, v55, s26
	global_load_u16 v128, v[128:129], off
	s_waitcnt vmcnt(0)
	v_cvt_f32_f16_e64 v128, v128
.LBB23_58:                              ;   in Loop: Header=BB23_6 Depth=2
	s_or_b32 exec_lo, exec_lo, s39
	global_load_u16 v129, v[0:1], off offset:52
	s_and_saveexec_b32 s39, s28
	s_cbranch_execz .LBB23_5
; %bb.59:                               ;   in Loop: Header=BB23_6 Depth=2
	v_add_co_u32 v76, s26, v76, v56
	s_delay_alu instid0(VALU_DEP_1)
	v_add_co_ci_u32_e64 v77, s26, v77, v57, s26
	global_load_u16 v76, v[76:77], off
	s_waitcnt vmcnt(0)
	v_cvt_f32_f16_e32 v127, v76
	s_branch .LBB23_5
.LBB23_60:
	s_nop 0
	s_sendmsg sendmsg(MSG_DEALLOC_VGPRS)
	s_endpgm
	.section	.rodata,"a",@progbits
	.p2align	6, 0x0
	.amdhsa_kernel _ZN2at6native12_GLOBAL__N_143conv_depthwise3d_cuda_backward_input_kernelIN3c104HalfEfLi3ELi3ELi3ELi1ELi1ELi1ELin1ELin1ELin1EEEvN5torch10headeronly6detail27GenericPackedTensorAccessorINS7_14TensorAccessorINS3_8ArrayRefIlEEKT_Lm4ENS6_16DefaultPtrTraitsEiEENS_6detail16IndexBoundsCheckILm5EiEESD_Lm5ESE_iEENS8_INS9_ISB_SC_Lm4ESE_iEESI_SC_Lm5ESE_iEESJ_iiiiiiiii
		.amdhsa_group_segment_fixed_size 0
		.amdhsa_private_segment_fixed_size 0
		.amdhsa_kernarg_size 440
		.amdhsa_user_sgpr_count 15
		.amdhsa_user_sgpr_dispatch_ptr 0
		.amdhsa_user_sgpr_queue_ptr 0
		.amdhsa_user_sgpr_kernarg_segment_ptr 1
		.amdhsa_user_sgpr_dispatch_id 0
		.amdhsa_user_sgpr_private_segment_size 0
		.amdhsa_wavefront_size32 1
		.amdhsa_uses_dynamic_stack 0
		.amdhsa_enable_private_segment 0
		.amdhsa_system_sgpr_workgroup_id_x 1
		.amdhsa_system_sgpr_workgroup_id_y 0
		.amdhsa_system_sgpr_workgroup_id_z 0
		.amdhsa_system_sgpr_workgroup_info 0
		.amdhsa_system_vgpr_workitem_id 0
		.amdhsa_next_free_vgpr 131
		.amdhsa_next_free_sgpr 105
		.amdhsa_reserve_vcc 1
		.amdhsa_float_round_mode_32 0
		.amdhsa_float_round_mode_16_64 0
		.amdhsa_float_denorm_mode_32 3
		.amdhsa_float_denorm_mode_16_64 3
		.amdhsa_dx10_clamp 1
		.amdhsa_ieee_mode 1
		.amdhsa_fp16_overflow 0
		.amdhsa_workgroup_processor_mode 1
		.amdhsa_memory_ordered 1
		.amdhsa_forward_progress 0
		.amdhsa_shared_vgpr_count 0
		.amdhsa_exception_fp_ieee_invalid_op 0
		.amdhsa_exception_fp_denorm_src 0
		.amdhsa_exception_fp_ieee_div_zero 0
		.amdhsa_exception_fp_ieee_overflow 0
		.amdhsa_exception_fp_ieee_underflow 0
		.amdhsa_exception_fp_ieee_inexact 0
		.amdhsa_exception_int_div_zero 0
	.end_amdhsa_kernel
	.section	.text._ZN2at6native12_GLOBAL__N_143conv_depthwise3d_cuda_backward_input_kernelIN3c104HalfEfLi3ELi3ELi3ELi1ELi1ELi1ELin1ELin1ELin1EEEvN5torch10headeronly6detail27GenericPackedTensorAccessorINS7_14TensorAccessorINS3_8ArrayRefIlEEKT_Lm4ENS6_16DefaultPtrTraitsEiEENS_6detail16IndexBoundsCheckILm5EiEESD_Lm5ESE_iEENS8_INS9_ISB_SC_Lm4ESE_iEESI_SC_Lm5ESE_iEESJ_iiiiiiiii,"axG",@progbits,_ZN2at6native12_GLOBAL__N_143conv_depthwise3d_cuda_backward_input_kernelIN3c104HalfEfLi3ELi3ELi3ELi1ELi1ELi1ELin1ELin1ELin1EEEvN5torch10headeronly6detail27GenericPackedTensorAccessorINS7_14TensorAccessorINS3_8ArrayRefIlEEKT_Lm4ENS6_16DefaultPtrTraitsEiEENS_6detail16IndexBoundsCheckILm5EiEESD_Lm5ESE_iEENS8_INS9_ISB_SC_Lm4ESE_iEESI_SC_Lm5ESE_iEESJ_iiiiiiiii,comdat
.Lfunc_end23:
	.size	_ZN2at6native12_GLOBAL__N_143conv_depthwise3d_cuda_backward_input_kernelIN3c104HalfEfLi3ELi3ELi3ELi1ELi1ELi1ELin1ELin1ELin1EEEvN5torch10headeronly6detail27GenericPackedTensorAccessorINS7_14TensorAccessorINS3_8ArrayRefIlEEKT_Lm4ENS6_16DefaultPtrTraitsEiEENS_6detail16IndexBoundsCheckILm5EiEESD_Lm5ESE_iEENS8_INS9_ISB_SC_Lm4ESE_iEESI_SC_Lm5ESE_iEESJ_iiiiiiiii, .Lfunc_end23-_ZN2at6native12_GLOBAL__N_143conv_depthwise3d_cuda_backward_input_kernelIN3c104HalfEfLi3ELi3ELi3ELi1ELi1ELi1ELin1ELin1ELin1EEEvN5torch10headeronly6detail27GenericPackedTensorAccessorINS7_14TensorAccessorINS3_8ArrayRefIlEEKT_Lm4ENS6_16DefaultPtrTraitsEiEENS_6detail16IndexBoundsCheckILm5EiEESD_Lm5ESE_iEENS8_INS9_ISB_SC_Lm4ESE_iEESI_SC_Lm5ESE_iEESJ_iiiiiiiii
                                        ; -- End function
	.section	.AMDGPU.csdata,"",@progbits
; Kernel info:
; codeLenInByte = 6724
; NumSgprs: 107
; NumVgprs: 131
; ScratchSize: 0
; MemoryBound: 0
; FloatMode: 240
; IeeeMode: 1
; LDSByteSize: 0 bytes/workgroup (compile time only)
; SGPRBlocks: 13
; VGPRBlocks: 16
; NumSGPRsForWavesPerEU: 107
; NumVGPRsForWavesPerEU: 131
; Occupancy: 10
; WaveLimiterHint : 0
; COMPUTE_PGM_RSRC2:SCRATCH_EN: 0
; COMPUTE_PGM_RSRC2:USER_SGPR: 15
; COMPUTE_PGM_RSRC2:TRAP_HANDLER: 0
; COMPUTE_PGM_RSRC2:TGID_X_EN: 1
; COMPUTE_PGM_RSRC2:TGID_Y_EN: 0
; COMPUTE_PGM_RSRC2:TGID_Z_EN: 0
; COMPUTE_PGM_RSRC2:TIDIG_COMP_CNT: 0
	.section	.text._ZN2at6native12_GLOBAL__N_143conv_depthwise3d_cuda_backward_input_kernelIN3c104HalfEfLi3ELi3ELi3ELin1ELin1ELin1ELi1ELi1ELi1EEEvN5torch10headeronly6detail27GenericPackedTensorAccessorINS7_14TensorAccessorINS3_8ArrayRefIlEEKT_Lm4ENS6_16DefaultPtrTraitsEiEENS_6detail16IndexBoundsCheckILm5EiEESD_Lm5ESE_iEENS8_INS9_ISB_SC_Lm4ESE_iEESI_SC_Lm5ESE_iEESJ_iiiiiiiii,"axG",@progbits,_ZN2at6native12_GLOBAL__N_143conv_depthwise3d_cuda_backward_input_kernelIN3c104HalfEfLi3ELi3ELi3ELin1ELin1ELin1ELi1ELi1ELi1EEEvN5torch10headeronly6detail27GenericPackedTensorAccessorINS7_14TensorAccessorINS3_8ArrayRefIlEEKT_Lm4ENS6_16DefaultPtrTraitsEiEENS_6detail16IndexBoundsCheckILm5EiEESD_Lm5ESE_iEENS8_INS9_ISB_SC_Lm4ESE_iEESI_SC_Lm5ESE_iEESJ_iiiiiiiii,comdat
	.globl	_ZN2at6native12_GLOBAL__N_143conv_depthwise3d_cuda_backward_input_kernelIN3c104HalfEfLi3ELi3ELi3ELin1ELin1ELin1ELi1ELi1ELi1EEEvN5torch10headeronly6detail27GenericPackedTensorAccessorINS7_14TensorAccessorINS3_8ArrayRefIlEEKT_Lm4ENS6_16DefaultPtrTraitsEiEENS_6detail16IndexBoundsCheckILm5EiEESD_Lm5ESE_iEENS8_INS9_ISB_SC_Lm4ESE_iEESI_SC_Lm5ESE_iEESJ_iiiiiiiii ; -- Begin function _ZN2at6native12_GLOBAL__N_143conv_depthwise3d_cuda_backward_input_kernelIN3c104HalfEfLi3ELi3ELi3ELin1ELin1ELin1ELi1ELi1ELi1EEEvN5torch10headeronly6detail27GenericPackedTensorAccessorINS7_14TensorAccessorINS3_8ArrayRefIlEEKT_Lm4ENS6_16DefaultPtrTraitsEiEENS_6detail16IndexBoundsCheckILm5EiEESD_Lm5ESE_iEENS8_INS9_ISB_SC_Lm4ESE_iEESI_SC_Lm5ESE_iEESJ_iiiiiiiii
	.p2align	8
	.type	_ZN2at6native12_GLOBAL__N_143conv_depthwise3d_cuda_backward_input_kernelIN3c104HalfEfLi3ELi3ELi3ELin1ELin1ELin1ELi1ELi1ELi1EEEvN5torch10headeronly6detail27GenericPackedTensorAccessorINS7_14TensorAccessorINS3_8ArrayRefIlEEKT_Lm4ENS6_16DefaultPtrTraitsEiEENS_6detail16IndexBoundsCheckILm5EiEESD_Lm5ESE_iEENS8_INS9_ISB_SC_Lm4ESE_iEESI_SC_Lm5ESE_iEESJ_iiiiiiiii,@function
_ZN2at6native12_GLOBAL__N_143conv_depthwise3d_cuda_backward_input_kernelIN3c104HalfEfLi3ELi3ELi3ELin1ELin1ELin1ELi1ELi1ELi1EEEvN5torch10headeronly6detail27GenericPackedTensorAccessorINS7_14TensorAccessorINS3_8ArrayRefIlEEKT_Lm4ENS6_16DefaultPtrTraitsEiEENS_6detail16IndexBoundsCheckILm5EiEESD_Lm5ESE_iEENS8_INS9_ISB_SC_Lm4ESE_iEESI_SC_Lm5ESE_iEESJ_iiiiiiiii: ; @_ZN2at6native12_GLOBAL__N_143conv_depthwise3d_cuda_backward_input_kernelIN3c104HalfEfLi3ELi3ELi3ELin1ELin1ELin1ELi1ELi1ELi1EEEvN5torch10headeronly6detail27GenericPackedTensorAccessorINS7_14TensorAccessorINS3_8ArrayRefIlEEKT_Lm4ENS6_16DefaultPtrTraitsEiEENS_6detail16IndexBoundsCheckILm5EiEESD_Lm5ESE_iEENS8_INS9_ISB_SC_Lm4ESE_iEESI_SC_Lm5ESE_iEESJ_iiiiiiiii
; %bb.0:
	s_clause 0x2
	s_load_b128 s[8:11], s[0:1], 0x38
	s_load_b32 s4, s[0:1], 0xc4
	s_load_b64 s[24:25], s[0:1], 0x48
	s_mov_b32 s6, exec_lo
	s_waitcnt lgkmcnt(0)
	s_abs_i32 s7, s9
	s_add_u32 s2, s0, 0xb8
	v_cvt_f32_u32_e32 v1, s7
	s_addc_u32 s3, s1, 0
	s_and_b32 s4, s4, 0xffff
	s_mul_i32 s26, s25, s8
	s_delay_alu instid0(SALU_CYCLE_1) | instskip(SKIP_3) | instid1(VALU_DEP_1)
	s_ashr_i32 s27, s26, 31
	v_rcp_iflag_f32_e32 v2, v1
	s_waitcnt_depctr 0xfff
	v_dual_mov_b32 v1, 0 :: v_dual_mul_f32 v4, 0x4f7ffffe, v2
	v_mad_u64_u32 v[2:3], null, s4, s15, v[0:1]
	s_delay_alu instid0(VALU_DEP_2) | instskip(NEXT) | instid1(VALU_DEP_1)
	v_cvt_u32_f32_e32 v0, v4
	v_readfirstlane_b32 s5, v0
	s_delay_alu instid0(VALU_DEP_3)
	v_cmpx_gt_i64_e64 s[26:27], v[2:3]
	s_cbranch_execz .LBB24_60
; %bb.1:
	s_clause 0x1
	s_load_b128 s[12:15], s[0:1], 0xc
	s_load_b64 s[28:29], s[0:1], 0x0
	s_sub_i32 s6, 0, s7
	s_mov_b32 s41, 0
	s_mul_i32 s8, s6, s5
	v_mul_lo_u32 v6, s6, v0
	s_mul_hi_u32 s8, s5, s8
	s_delay_alu instid0(SALU_CYCLE_1) | instskip(SKIP_1) | instid1(VALU_DEP_1)
	s_add_i32 s5, s5, s8
	s_ashr_i32 s8, s9, 31
	v_mul_hi_u32 v6, v0, v6
	s_waitcnt lgkmcnt(0)
	s_abs_i32 s16, s12
	s_ashr_i32 s12, s12, 31
	s_mul_hi_u32 s5, s16, s5
	s_xor_b32 s48, s12, s8
	s_mul_i32 s17, s5, s7
	s_delay_alu instid0(VALU_DEP_1)
	v_add_nc_u32_e32 v63, v0, v6
	s_sub_i32 s12, s16, s17
	s_add_i32 s16, s5, 1
	s_sub_i32 s17, s12, s7
	s_cmp_ge_u32 s12, s7
	s_cselect_b32 s5, s16, s5
	s_cselect_b32 s12, s17, s12
	s_add_i32 s16, s5, 1
	s_cmp_ge_u32 s12, s7
	s_cselect_b32 s5, s16, s5
	s_abs_i32 s12, s24
	s_abs_i32 s33, s11
	v_cvt_f32_u32_e32 v1, s12
	v_cvt_f32_u32_e32 v4, s33
	s_abs_i32 s40, s10
	s_load_b64 s[30:31], s[0:1], 0xac
	s_load_b32 s2, s[2:3], 0x0
	s_clause 0x3
	s_load_b128 s[16:19], s[0:1], 0x9c
	s_load_b32 s42, s[0:1], 0x7c
	s_load_b64 s[34:35], s[0:1], 0x1c
	s_load_b64 s[36:37], s[0:1], 0x30
	v_cvt_f32_u32_e32 v5, s40
	v_rcp_iflag_f32_e32 v1, v1
	v_rcp_iflag_f32_e32 v4, v4
	s_sub_i32 s3, 0, s12
	s_sub_i32 s6, 0, s33
	v_rcp_iflag_f32_e32 v5, v5
	s_sub_i32 s20, 0, s40
	s_ashr_i32 s47, s24, 31
	s_ashr_i32 s49, s11, 31
	;; [unrolled: 1-line block ×3, first 2 shown]
	s_waitcnt_depctr 0xfff
	v_dual_mul_f32 v1, 0x4f7ffffe, v1 :: v_dual_mul_f32 v4, 0x4f7ffffe, v4
	s_waitcnt lgkmcnt(0)
	s_lshl_b32 s44, s31, 1
	s_mul_i32 s43, s2, s4
	s_delay_alu instid0(VALU_DEP_1) | instskip(SKIP_3) | instid1(VALU_DEP_2)
	v_cvt_u32_f32_e32 v1, v1
	v_cvt_u32_f32_e32 v4, v4
	s_lshl_b32 s45, s30, 1
	s_lshl_b32 s46, s19, 1
	v_mul_lo_u32 v7, s3, v1
	s_delay_alu instid0(VALU_DEP_2) | instskip(NEXT) | instid1(VALU_DEP_2)
	v_mul_lo_u32 v8, s6, v4
	v_mul_hi_u32 v7, v1, v7
	v_mul_f32_e32 v5, 0x4f7ffffe, v5
	s_delay_alu instid0(VALU_DEP_3) | instskip(NEXT) | instid1(VALU_DEP_3)
	v_mul_hi_u32 v8, v4, v8
	v_add_nc_u32_e32 v60, v1, v7
	s_delay_alu instid0(VALU_DEP_3) | instskip(NEXT) | instid1(VALU_DEP_3)
	v_cvt_u32_f32_e32 v5, v5
	v_add_nc_u32_e32 v61, v4, v8
	s_delay_alu instid0(VALU_DEP_2) | instskip(SKIP_4) | instid1(SALU_CYCLE_1)
	v_mul_lo_u32 v9, s20, v5
	s_clause 0x1
	s_load_b64 s[38:39], s[0:1], 0x60
	s_load_b128 s[20:23], s[0:1], 0x50
	s_xor_b32 s0, s5, s48
	s_sub_i32 s48, s0, s48
	s_delay_alu instid0(SALU_CYCLE_1) | instskip(NEXT) | instid1(VALU_DEP_1)
	s_mul_i32 s51, s35, s48
	v_mul_hi_u32 v9, v5, v9
	s_delay_alu instid0(VALU_DEP_1)
	v_add_nc_u32_e32 v62, v5, v9
	s_branch .LBB24_3
.LBB24_2:                               ;   in Loop: Header=BB24_3 Depth=1
	s_or_b32 exec_lo, exec_lo, s52
	v_mul_lo_u32 v0, v68, s25
	s_waitcnt lgkmcnt(0)
	v_mul_lo_u32 v4, s20, v66
	v_mul_lo_u32 v6, s21, v67
	;; [unrolled: 1-line block ×3, first 2 shown]
	v_add_co_u32 v2, vcc_lo, v2, s43
	v_add_co_ci_u32_e32 v3, vcc_lo, 0, v3, vcc_lo
	v_ashrrev_i32_e32 v1, 31, v0
	v_ashrrev_i32_e32 v5, 31, v4
	;; [unrolled: 1-line block ×3, first 2 shown]
	v_mul_lo_u32 v10, s23, v64
	v_ashrrev_i32_e32 v9, 31, v8
	v_lshlrev_b64 v[0:1], 1, v[0:1]
	v_lshlrev_b64 v[4:5], 1, v[4:5]
	v_cvt_f16_f32_e32 v12, v71
	v_ashrrev_i32_e32 v11, 31, v10
	s_delay_alu instid0(VALU_DEP_4) | instskip(SKIP_2) | instid1(VALU_DEP_3)
	v_add_co_u32 v13, vcc_lo, s36, v0
	v_add_co_ci_u32_e32 v14, vcc_lo, s37, v1, vcc_lo
	v_lshlrev_b64 v[0:1], 1, v[6:7]
	v_add_co_u32 v6, vcc_lo, v13, v4
	s_delay_alu instid0(VALU_DEP_3) | instskip(SKIP_1) | instid1(VALU_DEP_3)
	v_add_co_ci_u32_e32 v7, vcc_lo, v14, v5, vcc_lo
	v_lshlrev_b64 v[4:5], 1, v[8:9]
	v_add_co_u32 v6, vcc_lo, v6, v0
	s_delay_alu instid0(VALU_DEP_3) | instskip(SKIP_1) | instid1(VALU_DEP_3)
	;; [unrolled: 4-line block ×3, first 2 shown]
	v_add_co_ci_u32_e32 v5, vcc_lo, v7, v5, vcc_lo
	v_cmp_le_i64_e32 vcc_lo, s[26:27], v[2:3]
	v_add_co_u32 v0, s0, v4, v0
	s_delay_alu instid0(VALU_DEP_1)
	v_add_co_ci_u32_e64 v1, s0, v5, v1, s0
	s_or_b32 s41, vcc_lo, s41
	global_store_b16 v[0:1], v12, off
	s_and_not1_b32 exec_lo, exec_lo, s41
	s_cbranch_execz .LBB24_60
.LBB24_3:                               ; =>This Loop Header: Depth=1
                                        ;     Child Loop BB24_6 Depth 2
	v_sub_nc_u32_e32 v0, 0, v2
	s_mov_b32 s52, exec_lo
	v_mov_b32_e32 v71, 0
	s_delay_alu instid0(VALU_DEP_2) | instskip(NEXT) | instid1(VALU_DEP_1)
	v_max_i32_e32 v0, v2, v0
	v_mul_hi_u32 v1, v0, v60
	s_delay_alu instid0(VALU_DEP_1) | instskip(NEXT) | instid1(VALU_DEP_1)
	v_mul_lo_u32 v4, v1, s12
	v_sub_nc_u32_e32 v0, v0, v4
	v_add_nc_u32_e32 v4, 1, v1
	s_delay_alu instid0(VALU_DEP_2) | instskip(SKIP_1) | instid1(VALU_DEP_2)
	v_subrev_nc_u32_e32 v5, s12, v0
	v_cmp_le_u32_e32 vcc_lo, s12, v0
	v_dual_cndmask_b32 v1, v1, v4 :: v_dual_cndmask_b32 v0, v0, v5
	v_ashrrev_i32_e32 v4, 31, v2
	s_delay_alu instid0(VALU_DEP_2) | instskip(NEXT) | instid1(VALU_DEP_3)
	v_add_nc_u32_e32 v5, 1, v1
	v_cmp_le_u32_e32 vcc_lo, s12, v0
	s_delay_alu instid0(VALU_DEP_3) | instskip(NEXT) | instid1(VALU_DEP_3)
	v_xor_b32_e32 v4, s47, v4
	v_cndmask_b32_e32 v0, v1, v5, vcc_lo
	s_delay_alu instid0(VALU_DEP_1) | instskip(NEXT) | instid1(VALU_DEP_1)
	v_xor_b32_e32 v0, v0, v4
	v_sub_nc_u32_e32 v1, v0, v4
	s_delay_alu instid0(VALU_DEP_1) | instskip(NEXT) | instid1(VALU_DEP_1)
	v_sub_nc_u32_e32 v0, 0, v1
	v_max_i32_e32 v0, v1, v0
	s_delay_alu instid0(VALU_DEP_1) | instskip(NEXT) | instid1(VALU_DEP_1)
	v_mul_hi_u32 v4, v0, v61
	v_mul_lo_u32 v5, v4, s33
	s_delay_alu instid0(VALU_DEP_1) | instskip(SKIP_1) | instid1(VALU_DEP_2)
	v_sub_nc_u32_e32 v0, v0, v5
	v_add_nc_u32_e32 v5, 1, v4
	v_subrev_nc_u32_e32 v6, s33, v0
	v_cmp_le_u32_e32 vcc_lo, s33, v0
	s_delay_alu instid0(VALU_DEP_3) | instskip(NEXT) | instid1(VALU_DEP_3)
	v_cndmask_b32_e32 v4, v4, v5, vcc_lo
	v_cndmask_b32_e32 v0, v0, v6, vcc_lo
	v_ashrrev_i32_e32 v5, 31, v1
	s_delay_alu instid0(VALU_DEP_3) | instskip(NEXT) | instid1(VALU_DEP_3)
	v_add_nc_u32_e32 v6, 1, v4
	v_cmp_le_u32_e32 vcc_lo, s33, v0
	s_delay_alu instid0(VALU_DEP_3) | instskip(NEXT) | instid1(VALU_DEP_3)
	v_xor_b32_e32 v5, s49, v5
	v_cndmask_b32_e32 v0, v4, v6, vcc_lo
	s_delay_alu instid0(VALU_DEP_1) | instskip(NEXT) | instid1(VALU_DEP_1)
	v_xor_b32_e32 v0, v0, v5
	v_sub_nc_u32_e32 v4, v0, v5
	s_delay_alu instid0(VALU_DEP_1) | instskip(NEXT) | instid1(VALU_DEP_1)
	v_sub_nc_u32_e32 v0, 0, v4
	v_max_i32_e32 v0, v4, v0
	s_delay_alu instid0(VALU_DEP_1) | instskip(NEXT) | instid1(VALU_DEP_1)
	v_mul_hi_u32 v5, v0, v62
	v_mul_lo_u32 v6, v5, s40
	s_delay_alu instid0(VALU_DEP_1) | instskip(SKIP_1) | instid1(VALU_DEP_2)
	v_sub_nc_u32_e32 v0, v0, v6
	v_add_nc_u32_e32 v6, 1, v5
	v_subrev_nc_u32_e32 v7, s40, v0
	v_cmp_le_u32_e32 vcc_lo, s40, v0
	s_delay_alu instid0(VALU_DEP_2) | instskip(SKIP_1) | instid1(VALU_DEP_2)
	v_dual_cndmask_b32 v5, v5, v6 :: v_dual_cndmask_b32 v0, v0, v7
	v_ashrrev_i32_e32 v6, 31, v4
	v_add_nc_u32_e32 v7, 1, v5
	s_delay_alu instid0(VALU_DEP_3) | instskip(NEXT) | instid1(VALU_DEP_3)
	v_cmp_le_u32_e32 vcc_lo, s40, v0
	v_xor_b32_e32 v6, s50, v6
	s_delay_alu instid0(VALU_DEP_3) | instskip(NEXT) | instid1(VALU_DEP_1)
	v_cndmask_b32_e32 v0, v5, v7, vcc_lo
	v_xor_b32_e32 v0, v0, v6
	s_delay_alu instid0(VALU_DEP_1) | instskip(NEXT) | instid1(VALU_DEP_1)
	v_sub_nc_u32_e32 v5, v0, v6
	v_sub_nc_u32_e32 v0, 0, v5
	s_delay_alu instid0(VALU_DEP_1) | instskip(NEXT) | instid1(VALU_DEP_1)
	v_max_i32_e32 v0, v5, v0
	v_mul_hi_u32 v6, v0, v63
	s_delay_alu instid0(VALU_DEP_1) | instskip(NEXT) | instid1(VALU_DEP_1)
	v_mul_lo_u32 v7, v6, s7
	v_sub_nc_u32_e32 v0, v0, v7
	v_add_nc_u32_e32 v7, 1, v6
	s_delay_alu instid0(VALU_DEP_2) | instskip(SKIP_1) | instid1(VALU_DEP_3)
	v_subrev_nc_u32_e32 v8, s7, v0
	v_cmp_le_u32_e32 vcc_lo, s7, v0
	v_cndmask_b32_e32 v6, v6, v7, vcc_lo
	s_delay_alu instid0(VALU_DEP_3) | instskip(SKIP_1) | instid1(VALU_DEP_3)
	v_cndmask_b32_e32 v0, v0, v8, vcc_lo
	v_ashrrev_i32_e32 v7, 31, v5
	v_add_nc_u32_e32 v8, 1, v6
	s_delay_alu instid0(VALU_DEP_3) | instskip(NEXT) | instid1(VALU_DEP_3)
	v_cmp_le_u32_e32 vcc_lo, s7, v0
	v_xor_b32_e32 v7, s8, v7
	s_delay_alu instid0(VALU_DEP_3) | instskip(SKIP_1) | instid1(VALU_DEP_2)
	v_cndmask_b32_e32 v0, v6, v8, vcc_lo
	v_mul_lo_u32 v6, v1, s24
	v_xor_b32_e32 v0, v0, v7
	s_delay_alu instid0(VALU_DEP_2) | instskip(NEXT) | instid1(VALU_DEP_2)
	v_sub_nc_u32_e32 v64, v2, v6
	v_sub_nc_u32_e32 v68, v0, v7
	v_mul_lo_u32 v7, v4, s11
	s_delay_alu instid0(VALU_DEP_2) | instskip(NEXT) | instid1(VALU_DEP_2)
	v_mul_lo_u32 v0, v68, s9
	v_sub_nc_u32_e32 v65, v1, v7
	s_delay_alu instid0(VALU_DEP_2) | instskip(SKIP_1) | instid1(VALU_DEP_2)
	v_sub_nc_u32_e32 v66, v5, v0
	v_mul_lo_u32 v5, v5, s10
	v_mul_lo_u32 v0, v66, s48
	s_delay_alu instid0(VALU_DEP_2) | instskip(NEXT) | instid1(VALU_DEP_2)
	v_sub_nc_u32_e32 v67, v4, v5
	v_add_nc_u32_e32 v8, s48, v0
	s_delay_alu instid0(VALU_DEP_1)
	v_cmpx_lt_i32_e64 v0, v8
	s_cbranch_execz .LBB24_2
; %bb.4:                                ;   in Loop: Header=BB24_3 Depth=1
	v_mul_lo_u32 v0, s42, v0
	v_add_nc_u32_e32 v21, s16, v67
	v_mul_lo_u32 v5, s34, v68
	v_add_nc_u32_e32 v40, s17, v65
	v_add_nc_u32_e32 v4, s18, v64
	s_delay_alu instid0(VALU_DEP_4) | instskip(SKIP_2) | instid1(VALU_DEP_4)
	v_mul_lo_u32 v17, v21, s14
	v_cmp_gt_i32_e64 s5, s13, v21
	v_ashrrev_i32_e32 v1, 31, v0
	v_or_b32_e32 v9, v4, v40
	v_ashrrev_i32_e32 v6, 31, v5
	v_cmp_gt_i32_e64 s4, s14, v40
	v_subrev_nc_u32_e32 v58, s44, v4
	v_lshlrev_b64 v[0:1], 1, v[0:1]
	v_add_nc_u32_e32 v7, v40, v17
	v_lshlrev_b64 v[5:6], 1, v[5:6]
	v_subrev_nc_u32_e32 v44, s30, v40
	v_subrev_nc_u32_e32 v8, s45, v40
	;; [unrolled: 1-line block ×3, first 2 shown]
	s_waitcnt lgkmcnt(0)
	v_add_co_u32 v0, vcc_lo, s38, v0
	v_mul_lo_u32 v11, v7, s15
	v_subrev_nc_u32_e32 v7, s31, v4
	v_add_co_ci_u32_e32 v1, vcc_lo, s39, v1, vcc_lo
	v_add_co_u32 v69, vcc_lo, s28, v5
	v_or_b32_e32 v5, v9, v21
	s_delay_alu instid0(VALU_DEP_4) | instskip(SKIP_2) | instid1(VALU_DEP_4)
	v_or_b32_e32 v10, v7, v40
	v_add_co_ci_u32_e32 v70, vcc_lo, s29, v6, vcc_lo
	v_cmp_gt_i32_e32 vcc_lo, s15, v4
	v_cmp_lt_i32_e64 s0, -1, v5
	s_delay_alu instid0(VALU_DEP_4)
	v_or_b32_e32 v12, v10, v21
	v_or_b32_e32 v14, v4, v44
	;; [unrolled: 1-line block ×4, first 2 shown]
	s_and_b32 s0, vcc_lo, s0
	v_cmp_lt_i32_e64 s1, -1, v12
	s_and_b32 s0, s0, s4
	v_or_b32_e32 v12, v58, v40
	s_and_b32 s53, s0, s5
	v_cmp_gt_i32_e64 s0, s15, v7
	v_or_b32_e32 v15, v16, v21
	v_or_b32_e32 v29, v18, v21
	;; [unrolled: 1-line block ×4, first 2 shown]
	s_and_b32 s1, s0, s1
	v_or_b32_e32 v22, v7, v8
	s_and_b32 s1, s1, s4
	v_cmp_lt_i32_e64 s2, -1, v13
	s_and_b32 s54, s1, s5
	v_cmp_gt_i32_e64 s1, s15, v58
	v_or_b32_e32 v13, v14, v21
	v_or_b32_e32 v25, v58, v8
	;; [unrolled: 1-line block ×4, first 2 shown]
	s_and_b32 s2, s1, s2
	v_cmp_lt_i32_e64 s3, -1, v13
	s_and_b32 s2, s2, s4
	s_and_b32 s71, vcc_lo, s4
	s_and_b32 s55, s2, s5
	v_cmp_gt_i32_e64 s2, s14, v44
	s_and_b32 s3, vcc_lo, s3
	v_or_b32_e32 v27, v12, v24
	v_or_b32_e32 v28, v14, v24
	s_and_b32 s72, s0, s4
	s_and_b32 s6, s3, s2
	v_cmp_lt_i32_e64 s3, -1, v15
	s_and_b32 s56, s6, s5
	v_or_b32_e32 v30, v16, v24
	s_and_b32 s73, s1, s4
	v_cmp_lt_i32_e64 s4, -1, v28
	s_and_b32 s3, s0, s3
	v_or_b32_e32 v32, v18, v24
	s_and_b32 s3, s3, s2
	v_or_b32_e32 v34, v20, v24
	s_and_b32 s57, s3, s5
	v_cmp_lt_i32_e64 s3, -1, v29
	v_or_b32_e32 v29, v20, v21
	v_or_b32_e32 v36, v22, v24
	v_or_b32_e32 v39, v25, v24
	v_subrev_nc_u32_e32 v42, s46, v21
	s_and_b32 s3, s1, s3
	v_cmp_lt_i32_e64 s6, -1, v29
	s_and_b32 s3, s3, s2
	v_or_b32_e32 v29, v22, v21
	s_and_b32 s58, s3, s5
	v_cmp_gt_i32_e64 s3, s14, v8
	s_and_b32 s6, vcc_lo, s6
	v_or_b32_e32 v43, v9, v42
	v_or_b32_e32 v45, v10, v42
	;; [unrolled: 1-line block ×3, first 2 shown]
	s_and_b32 s59, s6, s3
	v_cmp_lt_i32_e64 s6, -1, v29
	v_or_b32_e32 v29, v25, v21
	s_and_b32 s59, s59, s5
	v_or_b32_e32 v47, v14, v42
	v_add_nc_u32_e32 v12, v44, v17
	s_and_b32 s6, s0, s6
	v_or_b32_e32 v50, v18, v42
	s_and_b32 s6, s6, s3
	v_add_nc_u32_e32 v18, v8, v17
	s_and_b32 s60, s6, s5
	v_cmp_lt_i32_e64 s6, -1, v29
	v_or_b32_e32 v48, v16, v42
	v_mul_lo_u32 v19, v12, s15
	v_mul_lo_u32 v31, v18, s15
	;; [unrolled: 1-line block ×3, first 2 shown]
	s_and_b32 s6, s1, s6
	v_mul_lo_u32 v51, v42, s14
	s_and_b32 s61, s6, s3
	v_cmp_lt_i32_e64 s6, -1, v23
	s_and_b32 s61, s61, s5
	v_cmp_gt_i32_e64 s5, s13, v24
	v_or_b32_e32 v52, v20, v42
	v_add_nc_u32_e32 v13, v4, v19
	s_and_b32 s62, s71, s6
	v_cmp_lt_i32_e64 s6, -1, v26
	s_and_b32 s62, s62, s5
	v_add_nc_u32_e32 v15, v7, v19
	v_add_nc_u32_e32 v17, v58, v19
	;; [unrolled: 1-line block ×3, first 2 shown]
	s_and_b32 s63, s72, s6
	v_cmp_lt_i32_e64 s6, -1, v27
	s_and_b32 s63, s63, s5
	v_add_nc_u32_e32 v21, v7, v31
	v_add_nc_u32_e32 v29, v40, v33
	;; [unrolled: 1-line block ×3, first 2 shown]
	s_and_b32 s6, s73, s6
	v_add_nc_u32_e32 v31, v44, v33
	s_and_b32 s64, s6, s5
	s_and_b32 s6, vcc_lo, s4
	v_cmp_lt_i32_e64 s4, -1, v30
	s_and_b32 s6, s6, s2
	v_add_nc_u32_e32 v37, v8, v33
	s_and_b32 s65, s6, s5
	v_add_nc_u32_e32 v49, v40, v51
	s_and_b32 s6, s0, s4
	v_cmp_lt_i32_e64 s4, -1, v32
	s_and_b32 s6, s6, s2
	v_add_nc_u32_e32 v8, v8, v51
	s_and_b32 s66, s6, s5
	v_mul_lo_u32 v29, v29, s15
	s_and_b32 s67, s1, s4
	v_cmp_lt_i32_e64 s4, -1, v34
	s_and_b32 s6, s67, s2
	v_mul_lo_u32 v35, v31, s15
	s_and_b32 s67, s6, s5
	v_mul_lo_u32 v41, v37, s15
	s_and_b32 s4, vcc_lo, s4
	v_mul_lo_u32 v49, v49, s15
	s_and_b32 s6, s4, s3
	v_cmp_lt_i32_e64 s4, -1, v36
	s_and_b32 s68, s6, s5
	v_mul_lo_u32 v8, v8, s15
	v_or_b32_e32 v57, v25, v42
	v_add_nc_u32_e32 v5, v4, v11
	s_and_b32 s6, s0, s4
	v_cmp_lt_i32_e64 s4, -1, v39
	s_and_b32 s6, s6, s3
	v_add_nc_u32_e32 v9, v7, v11
	s_and_b32 s69, s6, s5
	v_add_nc_u32_e32 v11, v58, v11
	s_and_b32 s4, s1, s4
	v_or_b32_e32 v56, v22, v42
	s_and_b32 s6, s4, s3
	v_cmp_lt_i32_e64 s4, -1, v43
	s_and_b32 s70, s6, s5
	v_cmp_gt_i32_e64 s5, s13, v42
	v_cmp_lt_i32_e64 s6, -1, v45
	v_add_nc_u32_e32 v25, v4, v29
	s_and_b32 s4, s71, s4
	v_add_nc_u32_e32 v27, v7, v29
	s_and_b32 s71, s4, s5
	v_cmp_lt_i32_e64 s4, -1, v46
	s_and_b32 s6, s72, s6
	v_add_nc_u32_e32 v46, v44, v51
	s_and_b32 s72, s6, s5
	v_add_nc_u32_e32 v29, v58, v29
	s_and_b32 s6, s73, s4
	v_cmp_lt_i32_e64 s4, -1, v47
	s_and_b32 s73, s6, s5
	v_cmp_lt_i32_e64 s6, -1, v48
	v_mul_lo_u32 v53, v46, s15
	v_add_nc_u32_e32 v31, v4, v35
	s_and_b32 s4, vcc_lo, s4
	v_add_nc_u32_e32 v33, v7, v35
	s_and_b32 s4, s4, s2
	s_and_b32 s74, s0, s6
	;; [unrolled: 1-line block ×3, first 2 shown]
	v_cmp_lt_i32_e64 s4, -1, v50
	s_and_b32 s74, s74, s2
	v_add_nc_u32_e32 v35, v58, v35
	v_add_nc_u32_e32 v37, v4, v41
	;; [unrolled: 1-line block ×3, first 2 shown]
	s_and_b32 s75, s1, s4
	v_cmp_lt_i32_e64 s4, -1, v52
	s_and_b32 s2, s75, s2
	v_add_nc_u32_e32 v41, v58, v41
	s_and_b32 s75, s2, s5
	v_add_nc_u32_e32 v43, v4, v49
	s_and_b32 s2, vcc_lo, s4
	v_add_nc_u32_e32 v45, v7, v49
	s_and_b32 s2, s2, s3
	v_add_nc_u32_e32 v47, v58, v49
	v_add_nc_u32_e32 v49, v4, v53
	;; [unrolled: 1-line block ×5, first 2 shown]
	s_and_b32 s4, s2, s5
	v_cmp_lt_i32_e64 s2, -1, v57
	v_add_nc_u32_e32 v57, v7, v8
	v_add_nc_u32_e32 v71, v58, v8
	v_ashrrev_i32_e32 v6, 31, v5
	v_ashrrev_i32_e32 v10, 31, v9
	;; [unrolled: 1-line block ×24, first 2 shown]
	v_cmp_lt_i32_e32 vcc_lo, -1, v56
	v_ashrrev_i32_e32 v56, 31, v55
	v_ashrrev_i32_e32 v58, 31, v57
	;; [unrolled: 1-line block ×3, first 2 shown]
	v_mul_lo_u32 v4, s51, v66
	s_and_b32 s0, s0, vcc_lo
	s_and_b32 s1, s1, s2
	v_lshlrev_b64 v[6:7], 1, v[5:6]
	v_lshlrev_b64 v[8:9], 1, v[9:10]
	;; [unrolled: 1-line block ×27, first 2 shown]
	v_mov_b32_e32 v71, 0
	s_and_b32 s0, s0, s3
	s_and_b32 s1, s1, s3
	;; [unrolled: 1-line block ×5, first 2 shown]
	s_mov_b32 s2, s48
	s_branch .LBB24_6
.LBB24_5:                               ;   in Loop: Header=BB24_6 Depth=2
	s_or_b32 exec_lo, exec_lo, s3
	s_waitcnt vmcnt(26)
	v_fma_mix_f32 v5, v5, v72, v71 op_sel_hi:[0,1,0]
	v_add_co_u32 v0, vcc_lo, v0, 54
	v_add_co_ci_u32_e32 v1, vcc_lo, 0, v1, vcc_lo
	s_waitcnt vmcnt(25)
	s_delay_alu instid0(VALU_DEP_3) | instskip(SKIP_2) | instid1(SALU_CYCLE_1)
	v_fma_mix_f32 v5, v77, v75, v5 op_sel_hi:[0,1,0]
	v_add_nc_u32_e32 v4, s35, v4
	s_add_i32 s2, s2, -1
	s_cmp_eq_u32 s2, 0
	s_waitcnt vmcnt(24)
	v_fma_mix_f32 v5, v76, v78, v5 op_sel_hi:[0,1,0]
	s_waitcnt vmcnt(23)
	s_delay_alu instid0(VALU_DEP_1) | instskip(SKIP_1) | instid1(VALU_DEP_1)
	v_fma_mix_f32 v5, v81, v79, v5 op_sel_hi:[0,1,0]
	s_waitcnt vmcnt(22)
	v_fma_mix_f32 v5, v80, v82, v5 op_sel_hi:[0,1,0]
	s_waitcnt vmcnt(21)
	s_delay_alu instid0(VALU_DEP_1) | instskip(SKIP_1) | instid1(VALU_DEP_1)
	v_fma_mix_f32 v5, v85, v83, v5 op_sel_hi:[0,1,0]
	;; [unrolled: 5-line block ×12, first 2 shown]
	s_waitcnt vmcnt(0)
	v_fma_mix_f32 v71, v124, v126, v5 op_sel_hi:[0,1,0]
	s_cbranch_scc1 .LBB24_2
.LBB24_6:                               ;   Parent Loop BB24_3 Depth=1
                                        ; =>  This Inner Loop Header: Depth=2
	global_load_u16 v72, v[0:1], off
	v_ashrrev_i32_e32 v5, 31, v4
	s_delay_alu instid0(VALU_DEP_1) | instskip(SKIP_1) | instid1(VALU_DEP_2)
	v_lshlrev_b64 v[73:74], 1, v[4:5]
	v_mov_b32_e32 v5, 0
	v_add_co_u32 v73, vcc_lo, v69, v73
	s_delay_alu instid0(VALU_DEP_3)
	v_add_co_ci_u32_e32 v74, vcc_lo, v70, v74, vcc_lo
	s_and_saveexec_b32 s3, s53
	s_cbranch_execz .LBB24_8
; %bb.7:                                ;   in Loop: Header=BB24_6 Depth=2
	s_delay_alu instid0(VALU_DEP_2) | instskip(NEXT) | instid1(VALU_DEP_2)
	v_add_co_u32 v75, vcc_lo, v73, v6
	v_add_co_ci_u32_e32 v76, vcc_lo, v74, v7, vcc_lo
	global_load_u16 v5, v[75:76], off
	s_waitcnt vmcnt(0)
	v_cvt_f32_f16_e32 v5, v5
.LBB24_8:                               ;   in Loop: Header=BB24_6 Depth=2
	s_or_b32 exec_lo, exec_lo, s3
	global_load_u16 v75, v[0:1], off offset:2
	v_dual_mov_b32 v76, 0 :: v_dual_mov_b32 v77, 0
	s_and_saveexec_b32 s3, s54
	s_cbranch_execz .LBB24_10
; %bb.9:                                ;   in Loop: Header=BB24_6 Depth=2
	v_add_co_u32 v77, vcc_lo, v73, v8
	v_add_co_ci_u32_e32 v78, vcc_lo, v74, v9, vcc_lo
	global_load_u16 v77, v[77:78], off
	s_waitcnt vmcnt(0)
	v_cvt_f32_f16_e32 v77, v77
.LBB24_10:                              ;   in Loop: Header=BB24_6 Depth=2
	s_or_b32 exec_lo, exec_lo, s3
	global_load_u16 v78, v[0:1], off offset:4
	s_and_saveexec_b32 s3, s55
	s_cbranch_execz .LBB24_12
; %bb.11:                               ;   in Loop: Header=BB24_6 Depth=2
	v_add_co_u32 v79, vcc_lo, v73, v10
	v_add_co_ci_u32_e32 v80, vcc_lo, v74, v11, vcc_lo
	global_load_u16 v76, v[79:80], off
	s_waitcnt vmcnt(0)
	v_cvt_f32_f16_e32 v76, v76
.LBB24_12:                              ;   in Loop: Header=BB24_6 Depth=2
	s_or_b32 exec_lo, exec_lo, s3
	global_load_u16 v79, v[0:1], off offset:6
	v_dual_mov_b32 v80, 0 :: v_dual_mov_b32 v81, 0
	s_and_saveexec_b32 s3, s56
	s_cbranch_execz .LBB24_14
; %bb.13:                               ;   in Loop: Header=BB24_6 Depth=2
	v_add_co_u32 v81, vcc_lo, v73, v12
	v_add_co_ci_u32_e32 v82, vcc_lo, v74, v13, vcc_lo
	global_load_u16 v81, v[81:82], off
	s_waitcnt vmcnt(0)
	v_cvt_f32_f16_e32 v81, v81
.LBB24_14:                              ;   in Loop: Header=BB24_6 Depth=2
	s_or_b32 exec_lo, exec_lo, s3
	global_load_u16 v82, v[0:1], off offset:8
	s_and_saveexec_b32 s3, s57
	s_cbranch_execz .LBB24_16
; %bb.15:                               ;   in Loop: Header=BB24_6 Depth=2
	v_add_co_u32 v83, vcc_lo, v73, v14
	v_add_co_ci_u32_e32 v84, vcc_lo, v74, v15, vcc_lo
	global_load_u16 v80, v[83:84], off
	s_waitcnt vmcnt(0)
	v_cvt_f32_f16_e32 v80, v80
.LBB24_16:                              ;   in Loop: Header=BB24_6 Depth=2
	s_or_b32 exec_lo, exec_lo, s3
	global_load_u16 v83, v[0:1], off offset:10
	v_dual_mov_b32 v84, 0 :: v_dual_mov_b32 v85, 0
	s_and_saveexec_b32 s3, s58
	s_cbranch_execz .LBB24_18
; %bb.17:                               ;   in Loop: Header=BB24_6 Depth=2
	v_add_co_u32 v85, vcc_lo, v73, v16
	v_add_co_ci_u32_e32 v86, vcc_lo, v74, v17, vcc_lo
	global_load_u16 v85, v[85:86], off
	s_waitcnt vmcnt(0)
	v_cvt_f32_f16_e32 v85, v85
.LBB24_18:                              ;   in Loop: Header=BB24_6 Depth=2
	s_or_b32 exec_lo, exec_lo, s3
	global_load_u16 v86, v[0:1], off offset:12
	s_and_saveexec_b32 s3, s59
	s_cbranch_execz .LBB24_20
; %bb.19:                               ;   in Loop: Header=BB24_6 Depth=2
	v_add_co_u32 v87, vcc_lo, v73, v18
	v_add_co_ci_u32_e32 v88, vcc_lo, v74, v19, vcc_lo
	global_load_u16 v84, v[87:88], off
	s_waitcnt vmcnt(0)
	v_cvt_f32_f16_e32 v84, v84
.LBB24_20:                              ;   in Loop: Header=BB24_6 Depth=2
	s_or_b32 exec_lo, exec_lo, s3
	global_load_u16 v87, v[0:1], off offset:14
	v_dual_mov_b32 v88, 0 :: v_dual_mov_b32 v89, 0
	s_and_saveexec_b32 s3, s60
	s_cbranch_execz .LBB24_22
; %bb.21:                               ;   in Loop: Header=BB24_6 Depth=2
	v_add_co_u32 v89, vcc_lo, v73, v20
	v_add_co_ci_u32_e32 v90, vcc_lo, v74, v21, vcc_lo
	global_load_u16 v89, v[89:90], off
	s_waitcnt vmcnt(0)
	v_cvt_f32_f16_e32 v89, v89
.LBB24_22:                              ;   in Loop: Header=BB24_6 Depth=2
	s_or_b32 exec_lo, exec_lo, s3
	global_load_u16 v90, v[0:1], off offset:16
	s_and_saveexec_b32 s3, s61
	s_cbranch_execz .LBB24_24
; %bb.23:                               ;   in Loop: Header=BB24_6 Depth=2
	v_add_co_u32 v91, vcc_lo, v73, v22
	v_add_co_ci_u32_e32 v92, vcc_lo, v74, v23, vcc_lo
	global_load_u16 v88, v[91:92], off
	s_waitcnt vmcnt(0)
	v_cvt_f32_f16_e32 v88, v88
.LBB24_24:                              ;   in Loop: Header=BB24_6 Depth=2
	s_or_b32 exec_lo, exec_lo, s3
	global_load_u16 v91, v[0:1], off offset:18
	v_dual_mov_b32 v92, 0 :: v_dual_mov_b32 v93, 0
	s_and_saveexec_b32 s3, s62
	s_cbranch_execz .LBB24_26
; %bb.25:                               ;   in Loop: Header=BB24_6 Depth=2
	v_add_co_u32 v93, vcc_lo, v73, v24
	v_add_co_ci_u32_e32 v94, vcc_lo, v74, v25, vcc_lo
	global_load_u16 v93, v[93:94], off
	s_waitcnt vmcnt(0)
	v_cvt_f32_f16_e32 v93, v93
.LBB24_26:                              ;   in Loop: Header=BB24_6 Depth=2
	s_or_b32 exec_lo, exec_lo, s3
	global_load_u16 v94, v[0:1], off offset:20
	s_and_saveexec_b32 s3, s63
	s_cbranch_execz .LBB24_28
; %bb.27:                               ;   in Loop: Header=BB24_6 Depth=2
	v_add_co_u32 v95, vcc_lo, v73, v26
	v_add_co_ci_u32_e32 v96, vcc_lo, v74, v27, vcc_lo
	global_load_u16 v92, v[95:96], off
	s_waitcnt vmcnt(0)
	v_cvt_f32_f16_e32 v92, v92
.LBB24_28:                              ;   in Loop: Header=BB24_6 Depth=2
	s_or_b32 exec_lo, exec_lo, s3
	global_load_u16 v95, v[0:1], off offset:22
	v_dual_mov_b32 v96, 0 :: v_dual_mov_b32 v97, 0
	s_and_saveexec_b32 s3, s64
	s_cbranch_execz .LBB24_30
; %bb.29:                               ;   in Loop: Header=BB24_6 Depth=2
	v_add_co_u32 v97, vcc_lo, v73, v28
	v_add_co_ci_u32_e32 v98, vcc_lo, v74, v29, vcc_lo
	global_load_u16 v97, v[97:98], off
	s_waitcnt vmcnt(0)
	v_cvt_f32_f16_e32 v97, v97
.LBB24_30:                              ;   in Loop: Header=BB24_6 Depth=2
	s_or_b32 exec_lo, exec_lo, s3
	global_load_u16 v98, v[0:1], off offset:24
	s_and_saveexec_b32 s3, s65
	s_cbranch_execz .LBB24_32
; %bb.31:                               ;   in Loop: Header=BB24_6 Depth=2
	v_add_co_u32 v99, vcc_lo, v73, v30
	v_add_co_ci_u32_e32 v100, vcc_lo, v74, v31, vcc_lo
	global_load_u16 v96, v[99:100], off
	s_waitcnt vmcnt(0)
	v_cvt_f32_f16_e32 v96, v96
.LBB24_32:                              ;   in Loop: Header=BB24_6 Depth=2
	s_or_b32 exec_lo, exec_lo, s3
	global_load_u16 v99, v[0:1], off offset:26
	v_dual_mov_b32 v100, 0 :: v_dual_mov_b32 v101, 0
	s_and_saveexec_b32 s3, s66
	s_cbranch_execz .LBB24_34
; %bb.33:                               ;   in Loop: Header=BB24_6 Depth=2
	v_add_co_u32 v101, vcc_lo, v73, v32
	v_add_co_ci_u32_e32 v102, vcc_lo, v74, v33, vcc_lo
	global_load_u16 v101, v[101:102], off
	s_waitcnt vmcnt(0)
	v_cvt_f32_f16_e32 v101, v101
.LBB24_34:                              ;   in Loop: Header=BB24_6 Depth=2
	s_or_b32 exec_lo, exec_lo, s3
	global_load_u16 v102, v[0:1], off offset:28
	s_and_saveexec_b32 s3, s67
	s_cbranch_execz .LBB24_36
; %bb.35:                               ;   in Loop: Header=BB24_6 Depth=2
	v_add_co_u32 v103, vcc_lo, v73, v34
	v_add_co_ci_u32_e32 v104, vcc_lo, v74, v35, vcc_lo
	global_load_u16 v100, v[103:104], off
	s_waitcnt vmcnt(0)
	v_cvt_f32_f16_e32 v100, v100
.LBB24_36:                              ;   in Loop: Header=BB24_6 Depth=2
	s_or_b32 exec_lo, exec_lo, s3
	global_load_u16 v103, v[0:1], off offset:30
	v_dual_mov_b32 v104, 0 :: v_dual_mov_b32 v105, 0
	s_and_saveexec_b32 s3, s68
	s_cbranch_execz .LBB24_38
; %bb.37:                               ;   in Loop: Header=BB24_6 Depth=2
	v_add_co_u32 v105, vcc_lo, v73, v36
	v_add_co_ci_u32_e32 v106, vcc_lo, v74, v37, vcc_lo
	global_load_u16 v105, v[105:106], off
	s_waitcnt vmcnt(0)
	v_cvt_f32_f16_e32 v105, v105
.LBB24_38:                              ;   in Loop: Header=BB24_6 Depth=2
	s_or_b32 exec_lo, exec_lo, s3
	global_load_u16 v106, v[0:1], off offset:32
	s_and_saveexec_b32 s3, s69
	s_cbranch_execz .LBB24_40
; %bb.39:                               ;   in Loop: Header=BB24_6 Depth=2
	v_add_co_u32 v107, vcc_lo, v73, v38
	v_add_co_ci_u32_e32 v108, vcc_lo, v74, v39, vcc_lo
	global_load_u16 v104, v[107:108], off
	s_waitcnt vmcnt(0)
	v_cvt_f32_f16_e32 v104, v104
.LBB24_40:                              ;   in Loop: Header=BB24_6 Depth=2
	s_or_b32 exec_lo, exec_lo, s3
	global_load_u16 v107, v[0:1], off offset:34
	v_dual_mov_b32 v108, 0 :: v_dual_mov_b32 v109, 0
	s_and_saveexec_b32 s3, s70
	s_cbranch_execz .LBB24_42
; %bb.41:                               ;   in Loop: Header=BB24_6 Depth=2
	v_add_co_u32 v109, vcc_lo, v73, v40
	v_add_co_ci_u32_e32 v110, vcc_lo, v74, v41, vcc_lo
	global_load_u16 v109, v[109:110], off
	s_waitcnt vmcnt(0)
	v_cvt_f32_f16_e32 v109, v109
.LBB24_42:                              ;   in Loop: Header=BB24_6 Depth=2
	s_or_b32 exec_lo, exec_lo, s3
	global_load_u16 v110, v[0:1], off offset:36
	s_and_saveexec_b32 s3, s71
	s_cbranch_execz .LBB24_44
; %bb.43:                               ;   in Loop: Header=BB24_6 Depth=2
	v_add_co_u32 v111, vcc_lo, v73, v42
	v_add_co_ci_u32_e32 v112, vcc_lo, v74, v43, vcc_lo
	global_load_u16 v108, v[111:112], off
	s_waitcnt vmcnt(0)
	v_cvt_f32_f16_e32 v108, v108
.LBB24_44:                              ;   in Loop: Header=BB24_6 Depth=2
	s_or_b32 exec_lo, exec_lo, s3
	global_load_u16 v111, v[0:1], off offset:38
	v_dual_mov_b32 v112, 0 :: v_dual_mov_b32 v113, 0
	s_and_saveexec_b32 s3, s72
	s_cbranch_execz .LBB24_46
; %bb.45:                               ;   in Loop: Header=BB24_6 Depth=2
	v_add_co_u32 v113, vcc_lo, v73, v44
	v_add_co_ci_u32_e32 v114, vcc_lo, v74, v45, vcc_lo
	global_load_u16 v113, v[113:114], off
	s_waitcnt vmcnt(0)
	v_cvt_f32_f16_e32 v113, v113
.LBB24_46:                              ;   in Loop: Header=BB24_6 Depth=2
	s_or_b32 exec_lo, exec_lo, s3
	global_load_u16 v114, v[0:1], off offset:40
	s_and_saveexec_b32 s3, s73
	s_cbranch_execz .LBB24_48
; %bb.47:                               ;   in Loop: Header=BB24_6 Depth=2
	v_add_co_u32 v115, vcc_lo, v73, v46
	v_add_co_ci_u32_e32 v116, vcc_lo, v74, v47, vcc_lo
	global_load_u16 v112, v[115:116], off
	s_waitcnt vmcnt(0)
	v_cvt_f32_f16_e32 v112, v112
.LBB24_48:                              ;   in Loop: Header=BB24_6 Depth=2
	s_or_b32 exec_lo, exec_lo, s3
	global_load_u16 v115, v[0:1], off offset:42
	v_dual_mov_b32 v116, 0 :: v_dual_mov_b32 v117, 0
	s_and_saveexec_b32 s3, s6
	s_cbranch_execz .LBB24_50
; %bb.49:                               ;   in Loop: Header=BB24_6 Depth=2
	v_add_co_u32 v117, vcc_lo, v73, v48
	v_add_co_ci_u32_e32 v118, vcc_lo, v74, v49, vcc_lo
	global_load_u16 v117, v[117:118], off
	s_waitcnt vmcnt(0)
	v_cvt_f32_f16_e32 v117, v117
.LBB24_50:                              ;   in Loop: Header=BB24_6 Depth=2
	s_or_b32 exec_lo, exec_lo, s3
	global_load_u16 v118, v[0:1], off offset:44
	s_and_saveexec_b32 s3, s74
	s_cbranch_execz .LBB24_52
; %bb.51:                               ;   in Loop: Header=BB24_6 Depth=2
	v_add_co_u32 v119, vcc_lo, v73, v50
	v_add_co_ci_u32_e32 v120, vcc_lo, v74, v51, vcc_lo
	global_load_u16 v116, v[119:120], off
	s_waitcnt vmcnt(0)
	v_cvt_f32_f16_e32 v116, v116
.LBB24_52:                              ;   in Loop: Header=BB24_6 Depth=2
	s_or_b32 exec_lo, exec_lo, s3
	global_load_u16 v119, v[0:1], off offset:46
	v_dual_mov_b32 v120, 0 :: v_dual_mov_b32 v121, 0
	s_and_saveexec_b32 s3, s75
	s_cbranch_execz .LBB24_54
; %bb.53:                               ;   in Loop: Header=BB24_6 Depth=2
	v_add_co_u32 v121, vcc_lo, v73, v52
	v_add_co_ci_u32_e32 v122, vcc_lo, v74, v53, vcc_lo
	global_load_u16 v121, v[121:122], off
	s_waitcnt vmcnt(0)
	v_cvt_f32_f16_e32 v121, v121
.LBB24_54:                              ;   in Loop: Header=BB24_6 Depth=2
	s_or_b32 exec_lo, exec_lo, s3
	global_load_u16 v122, v[0:1], off offset:48
	s_and_saveexec_b32 s3, s4
	s_cbranch_execz .LBB24_56
; %bb.55:                               ;   in Loop: Header=BB24_6 Depth=2
	v_add_co_u32 v123, vcc_lo, v73, v54
	v_add_co_ci_u32_e32 v124, vcc_lo, v74, v55, vcc_lo
	global_load_u16 v120, v[123:124], off
	s_waitcnt vmcnt(0)
	v_cvt_f32_f16_e32 v120, v120
.LBB24_56:                              ;   in Loop: Header=BB24_6 Depth=2
	s_or_b32 exec_lo, exec_lo, s3
	global_load_u16 v123, v[0:1], off offset:50
	v_dual_mov_b32 v124, 0 :: v_dual_mov_b32 v125, 0
	s_and_saveexec_b32 s3, s0
	s_cbranch_execz .LBB24_58
; %bb.57:                               ;   in Loop: Header=BB24_6 Depth=2
	v_add_co_u32 v125, vcc_lo, v73, v56
	v_add_co_ci_u32_e32 v126, vcc_lo, v74, v57, vcc_lo
	global_load_u16 v125, v[125:126], off
	s_waitcnt vmcnt(0)
	v_cvt_f32_f16_e32 v125, v125
.LBB24_58:                              ;   in Loop: Header=BB24_6 Depth=2
	s_or_b32 exec_lo, exec_lo, s3
	global_load_u16 v126, v[0:1], off offset:52
	s_and_saveexec_b32 s3, s1
	s_cbranch_execz .LBB24_5
; %bb.59:                               ;   in Loop: Header=BB24_6 Depth=2
	v_add_co_u32 v73, vcc_lo, v73, v58
	v_add_co_ci_u32_e32 v74, vcc_lo, v74, v59, vcc_lo
	global_load_u16 v73, v[73:74], off
	s_waitcnt vmcnt(0)
	v_cvt_f32_f16_e32 v124, v73
	s_branch .LBB24_5
.LBB24_60:
	s_nop 0
	s_sendmsg sendmsg(MSG_DEALLOC_VGPRS)
	s_endpgm
	.section	.rodata,"a",@progbits
	.p2align	6, 0x0
	.amdhsa_kernel _ZN2at6native12_GLOBAL__N_143conv_depthwise3d_cuda_backward_input_kernelIN3c104HalfEfLi3ELi3ELi3ELin1ELin1ELin1ELi1ELi1ELi1EEEvN5torch10headeronly6detail27GenericPackedTensorAccessorINS7_14TensorAccessorINS3_8ArrayRefIlEEKT_Lm4ENS6_16DefaultPtrTraitsEiEENS_6detail16IndexBoundsCheckILm5EiEESD_Lm5ESE_iEENS8_INS9_ISB_SC_Lm4ESE_iEESI_SC_Lm5ESE_iEESJ_iiiiiiiii
		.amdhsa_group_segment_fixed_size 0
		.amdhsa_private_segment_fixed_size 0
		.amdhsa_kernarg_size 440
		.amdhsa_user_sgpr_count 15
		.amdhsa_user_sgpr_dispatch_ptr 0
		.amdhsa_user_sgpr_queue_ptr 0
		.amdhsa_user_sgpr_kernarg_segment_ptr 1
		.amdhsa_user_sgpr_dispatch_id 0
		.amdhsa_user_sgpr_private_segment_size 0
		.amdhsa_wavefront_size32 1
		.amdhsa_uses_dynamic_stack 0
		.amdhsa_enable_private_segment 0
		.amdhsa_system_sgpr_workgroup_id_x 1
		.amdhsa_system_sgpr_workgroup_id_y 0
		.amdhsa_system_sgpr_workgroup_id_z 0
		.amdhsa_system_sgpr_workgroup_info 0
		.amdhsa_system_vgpr_workitem_id 0
		.amdhsa_next_free_vgpr 127
		.amdhsa_next_free_sgpr 76
		.amdhsa_reserve_vcc 1
		.amdhsa_float_round_mode_32 0
		.amdhsa_float_round_mode_16_64 0
		.amdhsa_float_denorm_mode_32 3
		.amdhsa_float_denorm_mode_16_64 3
		.amdhsa_dx10_clamp 1
		.amdhsa_ieee_mode 1
		.amdhsa_fp16_overflow 0
		.amdhsa_workgroup_processor_mode 1
		.amdhsa_memory_ordered 1
		.amdhsa_forward_progress 0
		.amdhsa_shared_vgpr_count 0
		.amdhsa_exception_fp_ieee_invalid_op 0
		.amdhsa_exception_fp_denorm_src 0
		.amdhsa_exception_fp_ieee_div_zero 0
		.amdhsa_exception_fp_ieee_overflow 0
		.amdhsa_exception_fp_ieee_underflow 0
		.amdhsa_exception_fp_ieee_inexact 0
		.amdhsa_exception_int_div_zero 0
	.end_amdhsa_kernel
	.section	.text._ZN2at6native12_GLOBAL__N_143conv_depthwise3d_cuda_backward_input_kernelIN3c104HalfEfLi3ELi3ELi3ELin1ELin1ELin1ELi1ELi1ELi1EEEvN5torch10headeronly6detail27GenericPackedTensorAccessorINS7_14TensorAccessorINS3_8ArrayRefIlEEKT_Lm4ENS6_16DefaultPtrTraitsEiEENS_6detail16IndexBoundsCheckILm5EiEESD_Lm5ESE_iEENS8_INS9_ISB_SC_Lm4ESE_iEESI_SC_Lm5ESE_iEESJ_iiiiiiiii,"axG",@progbits,_ZN2at6native12_GLOBAL__N_143conv_depthwise3d_cuda_backward_input_kernelIN3c104HalfEfLi3ELi3ELi3ELin1ELin1ELin1ELi1ELi1ELi1EEEvN5torch10headeronly6detail27GenericPackedTensorAccessorINS7_14TensorAccessorINS3_8ArrayRefIlEEKT_Lm4ENS6_16DefaultPtrTraitsEiEENS_6detail16IndexBoundsCheckILm5EiEESD_Lm5ESE_iEENS8_INS9_ISB_SC_Lm4ESE_iEESI_SC_Lm5ESE_iEESJ_iiiiiiiii,comdat
.Lfunc_end24:
	.size	_ZN2at6native12_GLOBAL__N_143conv_depthwise3d_cuda_backward_input_kernelIN3c104HalfEfLi3ELi3ELi3ELin1ELin1ELin1ELi1ELi1ELi1EEEvN5torch10headeronly6detail27GenericPackedTensorAccessorINS7_14TensorAccessorINS3_8ArrayRefIlEEKT_Lm4ENS6_16DefaultPtrTraitsEiEENS_6detail16IndexBoundsCheckILm5EiEESD_Lm5ESE_iEENS8_INS9_ISB_SC_Lm4ESE_iEESI_SC_Lm5ESE_iEESJ_iiiiiiiii, .Lfunc_end24-_ZN2at6native12_GLOBAL__N_143conv_depthwise3d_cuda_backward_input_kernelIN3c104HalfEfLi3ELi3ELi3ELin1ELin1ELin1ELi1ELi1ELi1EEEvN5torch10headeronly6detail27GenericPackedTensorAccessorINS7_14TensorAccessorINS3_8ArrayRefIlEEKT_Lm4ENS6_16DefaultPtrTraitsEiEENS_6detail16IndexBoundsCheckILm5EiEESD_Lm5ESE_iEENS8_INS9_ISB_SC_Lm4ESE_iEESI_SC_Lm5ESE_iEESJ_iiiiiiiii
                                        ; -- End function
	.section	.AMDGPU.csdata,"",@progbits
; Kernel info:
; codeLenInByte = 4592
; NumSgprs: 78
; NumVgprs: 127
; ScratchSize: 0
; MemoryBound: 0
; FloatMode: 240
; IeeeMode: 1
; LDSByteSize: 0 bytes/workgroup (compile time only)
; SGPRBlocks: 9
; VGPRBlocks: 15
; NumSGPRsForWavesPerEU: 78
; NumVGPRsForWavesPerEU: 127
; Occupancy: 10
; WaveLimiterHint : 0
; COMPUTE_PGM_RSRC2:SCRATCH_EN: 0
; COMPUTE_PGM_RSRC2:USER_SGPR: 15
; COMPUTE_PGM_RSRC2:TRAP_HANDLER: 0
; COMPUTE_PGM_RSRC2:TGID_X_EN: 1
; COMPUTE_PGM_RSRC2:TGID_Y_EN: 0
; COMPUTE_PGM_RSRC2:TGID_Z_EN: 0
; COMPUTE_PGM_RSRC2:TIDIG_COMP_CNT: 0
	.section	.text._ZN2at6native12_GLOBAL__N_143conv_depthwise3d_cuda_backward_input_kernelIN3c104HalfEfLi3ELi3ELi3ELin1ELin1ELin1ELin1ELin1ELin1EEEvN5torch10headeronly6detail27GenericPackedTensorAccessorINS7_14TensorAccessorINS3_8ArrayRefIlEEKT_Lm4ENS6_16DefaultPtrTraitsEiEENS_6detail16IndexBoundsCheckILm5EiEESD_Lm5ESE_iEENS8_INS9_ISB_SC_Lm4ESE_iEESI_SC_Lm5ESE_iEESJ_iiiiiiiii,"axG",@progbits,_ZN2at6native12_GLOBAL__N_143conv_depthwise3d_cuda_backward_input_kernelIN3c104HalfEfLi3ELi3ELi3ELin1ELin1ELin1ELin1ELin1ELin1EEEvN5torch10headeronly6detail27GenericPackedTensorAccessorINS7_14TensorAccessorINS3_8ArrayRefIlEEKT_Lm4ENS6_16DefaultPtrTraitsEiEENS_6detail16IndexBoundsCheckILm5EiEESD_Lm5ESE_iEENS8_INS9_ISB_SC_Lm4ESE_iEESI_SC_Lm5ESE_iEESJ_iiiiiiiii,comdat
	.globl	_ZN2at6native12_GLOBAL__N_143conv_depthwise3d_cuda_backward_input_kernelIN3c104HalfEfLi3ELi3ELi3ELin1ELin1ELin1ELin1ELin1ELin1EEEvN5torch10headeronly6detail27GenericPackedTensorAccessorINS7_14TensorAccessorINS3_8ArrayRefIlEEKT_Lm4ENS6_16DefaultPtrTraitsEiEENS_6detail16IndexBoundsCheckILm5EiEESD_Lm5ESE_iEENS8_INS9_ISB_SC_Lm4ESE_iEESI_SC_Lm5ESE_iEESJ_iiiiiiiii ; -- Begin function _ZN2at6native12_GLOBAL__N_143conv_depthwise3d_cuda_backward_input_kernelIN3c104HalfEfLi3ELi3ELi3ELin1ELin1ELin1ELin1ELin1ELin1EEEvN5torch10headeronly6detail27GenericPackedTensorAccessorINS7_14TensorAccessorINS3_8ArrayRefIlEEKT_Lm4ENS6_16DefaultPtrTraitsEiEENS_6detail16IndexBoundsCheckILm5EiEESD_Lm5ESE_iEENS8_INS9_ISB_SC_Lm4ESE_iEESI_SC_Lm5ESE_iEESJ_iiiiiiiii
	.p2align	8
	.type	_ZN2at6native12_GLOBAL__N_143conv_depthwise3d_cuda_backward_input_kernelIN3c104HalfEfLi3ELi3ELi3ELin1ELin1ELin1ELin1ELin1ELin1EEEvN5torch10headeronly6detail27GenericPackedTensorAccessorINS7_14TensorAccessorINS3_8ArrayRefIlEEKT_Lm4ENS6_16DefaultPtrTraitsEiEENS_6detail16IndexBoundsCheckILm5EiEESD_Lm5ESE_iEENS8_INS9_ISB_SC_Lm4ESE_iEESI_SC_Lm5ESE_iEESJ_iiiiiiiii,@function
_ZN2at6native12_GLOBAL__N_143conv_depthwise3d_cuda_backward_input_kernelIN3c104HalfEfLi3ELi3ELi3ELin1ELin1ELin1ELin1ELin1ELin1EEEvN5torch10headeronly6detail27GenericPackedTensorAccessorINS7_14TensorAccessorINS3_8ArrayRefIlEEKT_Lm4ENS6_16DefaultPtrTraitsEiEENS_6detail16IndexBoundsCheckILm5EiEESD_Lm5ESE_iEENS8_INS9_ISB_SC_Lm4ESE_iEESI_SC_Lm5ESE_iEESJ_iiiiiiiii: ; @_ZN2at6native12_GLOBAL__N_143conv_depthwise3d_cuda_backward_input_kernelIN3c104HalfEfLi3ELi3ELi3ELin1ELin1ELin1ELin1ELin1ELin1EEEvN5torch10headeronly6detail27GenericPackedTensorAccessorINS7_14TensorAccessorINS3_8ArrayRefIlEEKT_Lm4ENS6_16DefaultPtrTraitsEiEENS_6detail16IndexBoundsCheckILm5EiEESD_Lm5ESE_iEENS8_INS9_ISB_SC_Lm4ESE_iEESI_SC_Lm5ESE_iEESJ_iiiiiiiii
; %bb.0:
	s_clause 0x2
	s_load_b128 s[60:63], s[0:1], 0x38
	s_load_b32 s4, s[0:1], 0xc4
	s_load_b64 s[92:93], s[0:1], 0x48
	s_mov_b32 s6, exec_lo
	s_waitcnt lgkmcnt(0)
	s_abs_i32 s76, s61
	s_add_u32 s2, s0, 0xb8
	v_cvt_f32_u32_e32 v1, s76
	s_addc_u32 s3, s1, 0
	s_and_b32 s4, s4, 0xffff
	s_mul_i32 s46, s93, s60
	s_delay_alu instid0(SALU_CYCLE_1) | instskip(SKIP_3) | instid1(VALU_DEP_1)
	s_ashr_i32 s47, s46, 31
	v_rcp_iflag_f32_e32 v2, v1
	s_waitcnt_depctr 0xfff
	v_dual_mov_b32 v1, 0 :: v_dual_mul_f32 v4, 0x4f7ffffe, v2
	v_mad_u64_u32 v[2:3], null, s4, s15, v[0:1]
	s_delay_alu instid0(VALU_DEP_2) | instskip(NEXT) | instid1(VALU_DEP_1)
	v_cvt_u32_f32_e32 v0, v4
	v_readfirstlane_b32 s5, v0
	s_delay_alu instid0(VALU_DEP_3)
	v_cmpx_gt_i64_e64 s[46:47], v[2:3]
	s_cbranch_execz .LBB25_60
; %bb.1:
	s_clause 0x4
	s_load_b32 s7, s[0:1], 0x7c
	s_load_b128 s[56:59], s[0:1], 0xc
	s_load_b64 s[8:9], s[0:1], 0x0
	s_load_b64 s[12:13], s[0:1], 0x60
	s_load_b128 s[16:19], s[0:1], 0x50
                                        ; implicit-def: $vgpr130 : SGPR spill to VGPR lane
	s_sub_i32 s6, 0, s76
	s_clause 0x1
	s_load_b256 s[48:55], s[0:1], 0x90
	s_load_b32 s10, s[0:1], 0xb0
	s_load_b32 s2, s[2:3], 0x0
	s_mul_i32 s3, s6, s5
	s_ashr_i32 s44, s61, 31
	s_mul_hi_u32 s3, s5, s3
	s_clause 0x1
	s_load_b64 s[70:71], s[0:1], 0x1c
	s_load_b64 s[42:43], s[0:1], 0x30
	s_add_i32 s5, s5, s3
	s_mov_b64 s[14:15], s[62:63]
	v_mul_lo_u32 v12, s6, v0
	s_mov_b32 s78, 0
	s_waitcnt lgkmcnt(0)
	v_writelane_b32 v130, s7, 0
	s_abs_i32 s3, s56
	s_ashr_i32 s7, s56, 31
	s_mul_hi_u32 s5, s3, s5
	s_xor_b32 s7, s7, s44
	v_writelane_b32 v130, s8, 1
	s_mul_i32 s40, s2, s4
	v_writelane_b32 v130, s9, 2
	s_mul_i32 s8, s5, s76
	s_delay_alu instid0(SALU_CYCLE_1)
	s_sub_i32 s3, s3, s8
	s_add_i32 s8, s5, 1
	v_writelane_b32 v130, s12, 3
	s_sub_i32 s9, s3, s76
	s_cmp_ge_u32 s3, s76
	s_cselect_b32 s0, s8, s5
	v_writelane_b32 v130, s13, 4
	s_cselect_b32 s1, s9, s3
	s_add_i32 s3, s0, 1
	s_cmp_ge_u32 s1, s76
	s_cselect_b32 s0, s3, s0
	v_writelane_b32 v130, s16, 5
	s_abs_i32 s85, s92
	s_abs_i32 s86, s15
	v_cvt_f32_u32_e32 v1, s85
	s_abs_i32 s87, s14
	v_writelane_b32 v130, s17, 6
	s_abs_i32 s88, s48
	v_cvt_f32_u32_e32 v4, s86
	v_rcp_iflag_f32_e32 v1, v1
	s_abs_i32 s89, s49
	v_writelane_b32 v130, s18, 7
	s_abs_i32 s90, s50
	v_cvt_f32_u32_e32 v5, s87
	v_cvt_f32_u32_e32 v6, s88
	;; [unrolled: 1-line block ×3, first 2 shown]
	v_writelane_b32 v130, s19, 8
	v_cvt_f32_u32_e32 v8, s90
	v_rcp_iflag_f32_e32 v4, v4
	s_lshl_b32 s1, s10, 1
	v_rcp_iflag_f32_e32 v5, v5
	v_writelane_b32 v130, s10, 9
	v_rcp_iflag_f32_e32 v6, v6
	v_rcp_iflag_f32_e32 v7, v7
	;; [unrolled: 1-line block ×3, first 2 shown]
	v_mul_f32_e32 v1, 0x4f7ffffe, v1
	v_writelane_b32 v130, s1, 10
	s_lshl_b32 s1, s55, 1
	v_mul_f32_e32 v4, 0x4f7ffffe, v4
	s_xor_b32 s0, s0, s7
	v_cvt_u32_f32_e32 v1, v1
	v_writelane_b32 v130, s1, 11
	s_lshl_b32 s1, s54, 1
	v_dual_mul_f32 v5, 0x4f7ffffe, v5 :: v_dual_mul_f32 v6, 0x4f7ffffe, v6
	v_dual_mul_f32 v7, 0x4f7ffffe, v7 :: v_dual_mul_f32 v8, 0x4f7ffffe, v8
	v_writelane_b32 v130, s1, 12
	s_sub_i32 s1, 0, s85
	s_delay_alu instid0(VALU_DEP_3)
	v_cvt_u32_f32_e32 v6, v6
	v_mul_lo_u32 v9, s1, v1
	v_cvt_u32_f32_e32 v4, v4
	v_cvt_u32_f32_e32 v5, v5
	;; [unrolled: 1-line block ×4, first 2 shown]
	s_sub_i32 s91, s0, s7
	s_sub_i32 s0, 0, s88
	;; [unrolled: 1-line block ×4, first 2 shown]
	v_mul_lo_u32 v13, s0, v6
	s_sub_i32 s0, 0, s89
	s_sub_i32 s1, 0, s90
	v_mul_lo_u32 v10, s2, v4
	v_mul_lo_u32 v11, s3, v5
	v_mul_hi_u32 v9, v1, v9
	v_mul_lo_u32 v14, s0, v7
	v_mul_lo_u32 v15, s1, v8
	s_ashr_i32 s77, s92, 31
	s_ashr_i32 s84, s15, 31
	;; [unrolled: 1-line block ×3, first 2 shown]
	v_mul_hi_u32 v10, v4, v10
	s_ashr_i32 s94, s48, 31
	v_add_nc_u32_e32 v60, v1, v9
	v_mul_hi_u32 v1, v5, v11
	v_mul_hi_u32 v9, v0, v12
	;; [unrolled: 1-line block ×5, first 2 shown]
	v_add_nc_u32_e32 v61, v4, v10
	s_ashr_i32 s95, s49, 31
	s_ashr_i32 s96, s50, 31
	v_add_nc_u32_e32 v62, v5, v1
	v_add_nc_u32_e32 v63, v0, v9
	v_add_nc_u32_e32 v64, v6, v11
	v_add_nc_u32_e32 v65, v7, v12
	v_add_nc_u32_e32 v66, v8, v13
	s_mul_i32 s45, s71, s91
	s_branch .LBB25_3
.LBB25_2:                               ;   in Loop: Header=BB25_3 Depth=1
	s_or_b32 exec_lo, exec_lo, s98
	v_mul_lo_u32 v0, v71, s93
	v_readlane_b32 s0, v130, 5
	v_readlane_b32 s1, v130, 6
	;; [unrolled: 1-line block ×4, first 2 shown]
	v_add_co_u32 v2, vcc_lo, v2, s40
	v_mul_lo_u32 v4, s0, v69
	v_ashrrev_i32_e32 v1, 31, v0
	v_mul_lo_u32 v6, s1, v70
	v_mul_lo_u32 v8, s2, v68
	v_add_co_ci_u32_e32 v3, vcc_lo, 0, v3, vcc_lo
	s_delay_alu instid0(VALU_DEP_4)
	v_lshlrev_b64 v[0:1], 1, v[0:1]
	v_mul_lo_u32 v10, s3, v67
	v_ashrrev_i32_e32 v5, 31, v4
	v_cvt_f16_f32_e32 v12, v74
	v_ashrrev_i32_e32 v7, 31, v6
	v_ashrrev_i32_e32 v9, 31, v8
	v_add_co_u32 v13, vcc_lo, s42, v0
	v_lshlrev_b64 v[4:5], 1, v[4:5]
	v_add_co_ci_u32_e32 v14, vcc_lo, s43, v1, vcc_lo
	v_lshlrev_b64 v[0:1], 1, v[6:7]
	v_ashrrev_i32_e32 v11, 31, v10
	s_delay_alu instid0(VALU_DEP_4) | instskip(NEXT) | instid1(VALU_DEP_4)
	v_add_co_u32 v6, vcc_lo, v13, v4
	v_add_co_ci_u32_e32 v7, vcc_lo, v14, v5, vcc_lo
	v_lshlrev_b64 v[4:5], 1, v[8:9]
	s_delay_alu instid0(VALU_DEP_3) | instskip(NEXT) | instid1(VALU_DEP_3)
	v_add_co_u32 v6, vcc_lo, v6, v0
	v_add_co_ci_u32_e32 v7, vcc_lo, v7, v1, vcc_lo
	v_lshlrev_b64 v[0:1], 1, v[10:11]
	s_delay_alu instid0(VALU_DEP_3) | instskip(NEXT) | instid1(VALU_DEP_3)
	v_add_co_u32 v4, vcc_lo, v6, v4
	v_add_co_ci_u32_e32 v5, vcc_lo, v7, v5, vcc_lo
	v_cmp_le_i64_e32 vcc_lo, s[46:47], v[2:3]
	s_delay_alu instid0(VALU_DEP_3) | instskip(NEXT) | instid1(VALU_DEP_1)
	v_add_co_u32 v0, s0, v4, v0
	v_add_co_ci_u32_e64 v1, s0, v5, v1, s0
	s_or_b32 s78, vcc_lo, s78
	global_store_b16 v[0:1], v12, off
	s_and_not1_b32 exec_lo, exec_lo, s78
	s_cbranch_execz .LBB25_60
.LBB25_3:                               ; =>This Loop Header: Depth=1
                                        ;     Child Loop BB25_6 Depth 2
	v_sub_nc_u32_e32 v0, 0, v2
	s_mov_b32 s1, s61
	s_mov_b64 s[2:3], s[62:63]
	v_mov_b32_e32 v74, 0
	s_mov_b32 s98, exec_lo
	v_max_i32_e32 v0, v2, v0
	s_delay_alu instid0(VALU_DEP_1) | instskip(NEXT) | instid1(VALU_DEP_1)
	v_mul_hi_u32 v1, v0, v60
	v_mul_lo_u32 v4, v1, s85
	s_delay_alu instid0(VALU_DEP_1) | instskip(SKIP_1) | instid1(VALU_DEP_2)
	v_sub_nc_u32_e32 v0, v0, v4
	v_add_nc_u32_e32 v4, 1, v1
	v_subrev_nc_u32_e32 v5, s85, v0
	v_cmp_le_u32_e32 vcc_lo, s85, v0
	s_delay_alu instid0(VALU_DEP_2) | instskip(SKIP_1) | instid1(VALU_DEP_2)
	v_dual_cndmask_b32 v1, v1, v4 :: v_dual_cndmask_b32 v0, v0, v5
	v_ashrrev_i32_e32 v4, 31, v2
	v_add_nc_u32_e32 v5, 1, v1
	s_delay_alu instid0(VALU_DEP_3) | instskip(NEXT) | instid1(VALU_DEP_3)
	v_cmp_le_u32_e32 vcc_lo, s85, v0
	v_xor_b32_e32 v4, s77, v4
	s_delay_alu instid0(VALU_DEP_3) | instskip(NEXT) | instid1(VALU_DEP_1)
	v_cndmask_b32_e32 v0, v1, v5, vcc_lo
	v_xor_b32_e32 v0, v0, v4
	s_delay_alu instid0(VALU_DEP_1) | instskip(NEXT) | instid1(VALU_DEP_1)
	v_sub_nc_u32_e32 v1, v0, v4
	v_sub_nc_u32_e32 v0, 0, v1
	s_delay_alu instid0(VALU_DEP_1) | instskip(NEXT) | instid1(VALU_DEP_1)
	v_max_i32_e32 v0, v1, v0
	v_mul_hi_u32 v4, v0, v61
	s_delay_alu instid0(VALU_DEP_1) | instskip(NEXT) | instid1(VALU_DEP_1)
	v_mul_lo_u32 v5, v4, s86
	v_sub_nc_u32_e32 v0, v0, v5
	v_add_nc_u32_e32 v5, 1, v4
	s_delay_alu instid0(VALU_DEP_2) | instskip(SKIP_1) | instid1(VALU_DEP_3)
	v_subrev_nc_u32_e32 v6, s86, v0
	v_cmp_le_u32_e32 vcc_lo, s86, v0
	v_cndmask_b32_e32 v4, v4, v5, vcc_lo
	s_delay_alu instid0(VALU_DEP_3) | instskip(SKIP_1) | instid1(VALU_DEP_3)
	v_cndmask_b32_e32 v0, v0, v6, vcc_lo
	v_ashrrev_i32_e32 v5, 31, v1
	v_add_nc_u32_e32 v6, 1, v4
	s_delay_alu instid0(VALU_DEP_3) | instskip(NEXT) | instid1(VALU_DEP_3)
	v_cmp_le_u32_e32 vcc_lo, s86, v0
	v_xor_b32_e32 v5, s84, v5
	s_delay_alu instid0(VALU_DEP_3) | instskip(NEXT) | instid1(VALU_DEP_1)
	v_cndmask_b32_e32 v0, v4, v6, vcc_lo
	v_xor_b32_e32 v0, v0, v5
	s_delay_alu instid0(VALU_DEP_1) | instskip(NEXT) | instid1(VALU_DEP_1)
	v_sub_nc_u32_e32 v4, v0, v5
	v_sub_nc_u32_e32 v0, 0, v4
	s_delay_alu instid0(VALU_DEP_1) | instskip(NEXT) | instid1(VALU_DEP_1)
	v_max_i32_e32 v0, v4, v0
	v_mul_hi_u32 v5, v0, v62
	s_delay_alu instid0(VALU_DEP_1) | instskip(NEXT) | instid1(VALU_DEP_1)
	v_mul_lo_u32 v6, v5, s87
	v_sub_nc_u32_e32 v0, v0, v6
	v_add_nc_u32_e32 v6, 1, v5
	s_delay_alu instid0(VALU_DEP_2) | instskip(SKIP_1) | instid1(VALU_DEP_2)
	v_subrev_nc_u32_e32 v7, s87, v0
	v_cmp_le_u32_e32 vcc_lo, s87, v0
	v_dual_cndmask_b32 v5, v5, v6 :: v_dual_cndmask_b32 v0, v0, v7
	v_ashrrev_i32_e32 v6, 31, v4
	s_delay_alu instid0(VALU_DEP_2) | instskip(NEXT) | instid1(VALU_DEP_3)
	v_add_nc_u32_e32 v7, 1, v5
	v_cmp_le_u32_e32 vcc_lo, s87, v0
	s_delay_alu instid0(VALU_DEP_3) | instskip(NEXT) | instid1(VALU_DEP_3)
	v_xor_b32_e32 v6, s73, v6
	v_cndmask_b32_e32 v0, v5, v7, vcc_lo
	s_delay_alu instid0(VALU_DEP_1) | instskip(NEXT) | instid1(VALU_DEP_1)
	v_xor_b32_e32 v0, v0, v6
	v_sub_nc_u32_e32 v5, v0, v6
	s_delay_alu instid0(VALU_DEP_1) | instskip(NEXT) | instid1(VALU_DEP_1)
	v_sub_nc_u32_e32 v0, 0, v5
	v_max_i32_e32 v0, v5, v0
	s_delay_alu instid0(VALU_DEP_1) | instskip(NEXT) | instid1(VALU_DEP_1)
	v_mul_hi_u32 v6, v0, v63
	v_mul_lo_u32 v7, v6, s76
	s_delay_alu instid0(VALU_DEP_1) | instskip(SKIP_1) | instid1(VALU_DEP_2)
	v_sub_nc_u32_e32 v0, v0, v7
	v_add_nc_u32_e32 v7, 1, v6
	v_subrev_nc_u32_e32 v8, s76, v0
	v_cmp_le_u32_e32 vcc_lo, s76, v0
	s_delay_alu instid0(VALU_DEP_3) | instskip(NEXT) | instid1(VALU_DEP_3)
	v_cndmask_b32_e32 v6, v6, v7, vcc_lo
	v_cndmask_b32_e32 v0, v0, v8, vcc_lo
	v_ashrrev_i32_e32 v7, 31, v5
	s_delay_alu instid0(VALU_DEP_3) | instskip(NEXT) | instid1(VALU_DEP_3)
	v_add_nc_u32_e32 v8, 1, v6
	v_cmp_le_u32_e32 vcc_lo, s76, v0
	s_delay_alu instid0(VALU_DEP_3) | instskip(NEXT) | instid1(VALU_DEP_3)
	v_xor_b32_e32 v7, s44, v7
	v_cndmask_b32_e32 v0, v6, v8, vcc_lo
	v_mul_lo_u32 v6, v1, s92
	s_delay_alu instid0(VALU_DEP_2) | instskip(NEXT) | instid1(VALU_DEP_2)
	v_xor_b32_e32 v0, v0, v7
	v_sub_nc_u32_e32 v67, v2, v6
	s_delay_alu instid0(VALU_DEP_2) | instskip(SKIP_1) | instid1(VALU_DEP_2)
	v_sub_nc_u32_e32 v71, v0, v7
	v_mul_lo_u32 v7, v4, s3
	v_mul_lo_u32 v0, v71, s1
	s_delay_alu instid0(VALU_DEP_2) | instskip(NEXT) | instid1(VALU_DEP_2)
	v_sub_nc_u32_e32 v68, v1, v7
	v_sub_nc_u32_e32 v69, v5, v0
	v_mul_lo_u32 v5, v5, s2
	s_delay_alu instid0(VALU_DEP_2) | instskip(NEXT) | instid1(VALU_DEP_2)
	v_mul_lo_u32 v0, v69, s91
	v_sub_nc_u32_e32 v70, v4, v5
	s_delay_alu instid0(VALU_DEP_2) | instskip(NEXT) | instid1(VALU_DEP_1)
	v_add_nc_u32_e32 v8, s91, v0
	v_cmpx_lt_i32_e64 v0, v8
	s_cbranch_execz .LBB25_2
; %bb.4:                                ;   in Loop: Header=BB25_3 Depth=1
	v_add_nc_u32_e32 v5, s53, v67
	v_readlane_b32 s0, v130, 0
	v_readlane_b32 s4, v130, 1
	;; [unrolled: 1-line block ×3, first 2 shown]
	s_mov_b64 s[64:65], s[42:43]
	v_sub_nc_u32_e32 v1, 0, v5
	v_mul_lo_u32 v0, s0, v0
	v_readlane_b32 s0, v130, 9
	s_mov_b32 s66, s73
	s_mov_b32 s73, s44
	v_max_i32_e32 v1, v5, v1
	s_mov_b32 s72, s40
	s_delay_alu instid0(VALU_DEP_1) | instskip(NEXT) | instid1(VALU_DEP_1)
	v_mul_hi_u32 v4, v1, v66
	v_mul_lo_u32 v6, v4, s90
	s_delay_alu instid0(VALU_DEP_1) | instskip(NEXT) | instid1(VALU_DEP_1)
	v_sub_nc_u32_e32 v1, v1, v6
	v_subrev_nc_u32_e32 v7, s90, v1
	v_cmp_le_u32_e32 vcc_lo, s90, v1
	s_delay_alu instid0(VALU_DEP_2) | instskip(NEXT) | instid1(VALU_DEP_1)
	v_dual_cndmask_b32 v1, v1, v7 :: v_dual_add_nc_u32 v6, 1, v4
	v_cndmask_b32_e32 v4, v4, v6, vcc_lo
	v_ashrrev_i32_e32 v6, 31, v5
	v_subrev_nc_u32_e32 v8, s0, v5
	v_readlane_b32 s0, v130, 10
	v_cmp_le_u32_e32 vcc_lo, s90, v1
	v_add_nc_u32_e32 v7, 1, v4
	v_xor_b32_e32 v6, s96, v6
	s_delay_alu instid0(VALU_DEP_2)
	v_cndmask_b32_e32 v1, v4, v7, vcc_lo
	v_subrev_nc_u32_e32 v7, s0, v5
	v_sub_nc_u32_e32 v4, 0, v8
	v_readlane_b32 s0, v130, 3
	v_readlane_b32 s1, v130, 4
	v_xor_b32_e32 v9, v1, v6
	v_sub_nc_u32_e32 v10, 0, v7
	v_max_i32_e32 v11, v8, v4
	v_ashrrev_i32_e32 v1, 31, v0
	s_delay_alu instid0(VALU_DEP_4) | instskip(NEXT) | instid1(VALU_DEP_4)
	v_sub_nc_u32_e32 v4, v9, v6
	v_max_i32_e32 v6, v7, v10
	s_delay_alu instid0(VALU_DEP_4) | instskip(NEXT) | instid1(VALU_DEP_4)
	v_mul_hi_u32 v9, v11, v66
	v_lshlrev_b64 v[0:1], 1, v[0:1]
	s_delay_alu instid0(VALU_DEP_4) | instskip(NEXT) | instid1(VALU_DEP_4)
	v_mul_lo_u32 v10, v4, s50
	v_mul_hi_u32 v12, v6, v66
	v_cmp_gt_i32_e64 s42, s59, v4
	s_delay_alu instid0(VALU_DEP_4)
	v_add_co_u32 v0, vcc_lo, s0, v0
	v_mul_lo_u32 v13, v9, s90
	v_add_co_ci_u32_e32 v1, vcc_lo, s1, v1, vcc_lo
	v_cmp_eq_u32_e32 vcc_lo, v10, v5
	v_add_nc_u32_e32 v10, s52, v68
	v_mul_lo_u32 v5, v12, s90
	v_readlane_b32 s1, v130, 11
	v_sub_nc_u32_e32 v11, v11, v13
	s_delay_alu instid0(VALU_DEP_4) | instskip(NEXT) | instid1(VALU_DEP_4)
	v_subrev_nc_u32_e32 v13, s55, v10
	v_sub_nc_u32_e32 v5, v6, v5
	s_delay_alu instid0(VALU_DEP_2) | instskip(NEXT) | instid1(VALU_DEP_4)
	v_sub_nc_u32_e32 v6, 0, v13
	v_cmp_le_u32_e64 s0, s90, v11
	s_delay_alu instid0(VALU_DEP_2) | instskip(NEXT) | instid1(VALU_DEP_1)
	v_max_i32_e32 v6, v13, v6
	v_mul_hi_u32 v14, v6, v65
	s_delay_alu instid0(VALU_DEP_1) | instskip(NEXT) | instid1(VALU_DEP_1)
	v_mul_lo_u32 v15, v14, s89
	v_sub_nc_u32_e32 v6, v6, v15
	v_subrev_nc_u32_e32 v15, s90, v11
	s_delay_alu instid0(VALU_DEP_1) | instskip(SKIP_1) | instid1(VALU_DEP_1)
	v_cndmask_b32_e64 v11, v11, v15, s0
	v_add_nc_u32_e32 v15, 1, v9
	v_cndmask_b32_e64 v9, v9, v15, s0
	v_subrev_nc_u32_e32 v15, s90, v5
	v_cmp_le_u32_e64 s0, s90, v5
	s_delay_alu instid0(VALU_DEP_1) | instskip(SKIP_1) | instid1(VALU_DEP_1)
	v_cndmask_b32_e64 v5, v5, v15, s0
	v_add_nc_u32_e32 v15, 1, v12
	v_cndmask_b32_e64 v12, v12, v15, s0
	v_subrev_nc_u32_e32 v15, s89, v6
	v_cmp_le_u32_e64 s0, s89, v6
	s_delay_alu instid0(VALU_DEP_1) | instskip(SKIP_1) | instid1(VALU_DEP_1)
	v_cndmask_b32_e64 v15, v6, v15, s0
	v_add_nc_u32_e32 v6, 1, v14
	v_cndmask_b32_e64 v14, v14, v6, s0
	v_add_nc_u32_e32 v6, 1, v9
	v_cmp_le_u32_e64 s0, s90, v11
	v_sub_nc_u32_e32 v11, 0, v10
	s_delay_alu instid0(VALU_DEP_2) | instskip(SKIP_4) | instid1(VALU_DEP_3)
	v_cndmask_b32_e64 v6, v9, v6, s0
	v_cmp_le_u32_e64 s0, s90, v5
	v_ashrrev_i32_e32 v5, 31, v8
	v_add_nc_u32_e32 v9, 1, v12
	v_max_i32_e32 v11, v10, v11
	v_xor_b32_e32 v5, s96, v5
	s_delay_alu instid0(VALU_DEP_3) | instskip(SKIP_2) | instid1(VALU_DEP_4)
	v_cndmask_b32_e64 v9, v12, v9, s0
	v_cmp_le_u32_e64 s0, s89, v15
	v_ashrrev_i32_e32 v12, 31, v13
	v_xor_b32_e32 v6, v6, v5
	s_delay_alu instid0(VALU_DEP_2) | instskip(NEXT) | instid1(VALU_DEP_2)
	v_xor_b32_e32 v12, s95, v12
	v_sub_nc_u32_e32 v5, v6, v5
	v_ashrrev_i32_e32 v6, 31, v7
	s_delay_alu instid0(VALU_DEP_2) | instskip(NEXT) | instid1(VALU_DEP_2)
	v_cmp_gt_i32_e64 s43, s59, v5
	v_xor_b32_e32 v6, s96, v6
	s_delay_alu instid0(VALU_DEP_1) | instskip(NEXT) | instid1(VALU_DEP_1)
	v_xor_b32_e32 v9, v9, v6
	v_sub_nc_u32_e32 v6, v9, v6
	v_mul_lo_u32 v9, v5, s50
	s_delay_alu instid0(VALU_DEP_2) | instskip(NEXT) | instid1(VALU_DEP_2)
	v_cmp_gt_i32_e64 s44, s59, v6
	v_cmp_eq_u32_e64 s2, v9, v8
	v_mul_lo_u32 v9, v6, s50
	v_add_nc_u32_e32 v8, 1, v14
	s_delay_alu instid0(VALU_DEP_1) | instskip(NEXT) | instid1(VALU_DEP_3)
	v_cndmask_b32_e64 v8, v14, v8, s0
	v_cmp_eq_u32_e64 s0, v9, v7
	v_mul_hi_u32 v9, v11, v65
	s_delay_alu instid0(VALU_DEP_3) | instskip(NEXT) | instid1(VALU_DEP_1)
	v_xor_b32_e32 v7, v8, v12
	v_sub_nc_u32_e32 v7, v7, v12
	s_delay_alu instid0(VALU_DEP_3) | instskip(NEXT) | instid1(VALU_DEP_2)
	v_mul_lo_u32 v8, v9, s89
	v_mul_lo_u32 v12, v7, s49
	v_cmp_gt_i32_e64 s34, s58, v7
	s_delay_alu instid0(VALU_DEP_3) | instskip(SKIP_1) | instid1(VALU_DEP_4)
	v_sub_nc_u32_e32 v8, v11, v8
	v_subrev_nc_u32_e32 v11, s1, v10
	v_cmp_eq_u32_e64 s15, v12, v13
	s_delay_alu instid0(VALU_DEP_3) | instskip(NEXT) | instid1(VALU_DEP_3)
	v_subrev_nc_u32_e32 v12, s89, v8
	v_sub_nc_u32_e32 v13, 0, v11
	v_cmp_le_u32_e64 s1, s89, v8
	s_delay_alu instid0(VALU_DEP_2) | instskip(NEXT) | instid1(VALU_DEP_2)
	v_max_i32_e32 v13, v11, v13
	v_cndmask_b32_e64 v8, v8, v12, s1
	v_add_nc_u32_e32 v12, 1, v9
	s_delay_alu instid0(VALU_DEP_1) | instskip(NEXT) | instid1(VALU_DEP_4)
	v_cndmask_b32_e64 v9, v9, v12, s1
	v_mul_hi_u32 v12, v13, v65
	s_delay_alu instid0(VALU_DEP_4) | instskip(NEXT) | instid1(VALU_DEP_2)
	v_cmp_le_u32_e64 s1, s89, v8
	v_mul_lo_u32 v14, v12, s89
	s_delay_alu instid0(VALU_DEP_1) | instskip(SKIP_1) | instid1(VALU_DEP_1)
	v_sub_nc_u32_e32 v13, v13, v14
	v_add_nc_u32_e32 v14, 1, v9
	v_cndmask_b32_e64 v8, v9, v14, s1
	s_delay_alu instid0(VALU_DEP_3) | instskip(SKIP_1) | instid1(VALU_DEP_1)
	v_subrev_nc_u32_e32 v9, s89, v13
	v_cmp_le_u32_e64 s1, s89, v13
	v_cndmask_b32_e64 v13, v13, v9, s1
	v_add_nc_u32_e32 v9, 1, v12
	s_delay_alu instid0(VALU_DEP_1) | instskip(SKIP_1) | instid1(VALU_DEP_4)
	v_cndmask_b32_e64 v12, v12, v9, s1
	v_ashrrev_i32_e32 v9, 31, v10
	v_cmp_le_u32_e64 s1, s89, v13
	v_ashrrev_i32_e32 v13, 31, v11
	s_delay_alu instid0(VALU_DEP_3) | instskip(NEXT) | instid1(VALU_DEP_1)
	v_xor_b32_e32 v9, s95, v9
	v_xor_b32_e32 v8, v8, v9
	s_delay_alu instid0(VALU_DEP_1) | instskip(SKIP_1) | instid1(VALU_DEP_2)
	v_sub_nc_u32_e32 v9, v8, v9
	v_add_nc_u32_e32 v8, 1, v12
	v_cmp_gt_i32_e64 s37, s58, v9
	s_delay_alu instid0(VALU_DEP_2) | instskip(SKIP_2) | instid1(VALU_DEP_4)
	v_cndmask_b32_e64 v8, v12, v8, s1
	v_xor_b32_e32 v12, s95, v13
	v_mul_lo_u32 v13, v9, s49
	s_and_b32 s75, s42, s37
	s_and_b32 s81, s43, s37
	s_delay_alu instid0(VALU_DEP_2) | instskip(SKIP_1) | instid1(VALU_DEP_2)
	v_xor_b32_e32 v8, v8, v12
	s_and_b32 s82, s44, s37
	v_cmp_eq_u32_e64 s21, v13, v10
	s_delay_alu instid0(VALU_DEP_2) | instskip(SKIP_1) | instid1(VALU_DEP_2)
	v_sub_nc_u32_e32 v8, v8, v12
	v_add_nc_u32_e32 v12, s51, v70
	v_mul_lo_u32 v10, v8, s49
	s_delay_alu instid0(VALU_DEP_2) | instskip(SKIP_1) | instid1(VALU_DEP_3)
	v_subrev_nc_u32_e32 v13, s54, v12
	v_cmp_gt_i32_e64 s29, s58, v8
	v_cmp_eq_u32_e64 s26, v10, v11
	s_delay_alu instid0(VALU_DEP_3) | instskip(NEXT) | instid1(VALU_DEP_1)
	v_sub_nc_u32_e32 v10, 0, v13
	v_max_i32_e32 v10, v13, v10
	s_delay_alu instid0(VALU_DEP_1) | instskip(NEXT) | instid1(VALU_DEP_1)
	v_mul_hi_u32 v11, v10, v64
	v_mul_lo_u32 v14, v11, s88
	s_delay_alu instid0(VALU_DEP_1) | instskip(NEXT) | instid1(VALU_DEP_1)
	v_sub_nc_u32_e32 v10, v10, v14
	v_subrev_nc_u32_e32 v14, s88, v10
	v_cmp_le_u32_e64 s1, s88, v10
	s_delay_alu instid0(VALU_DEP_1) | instskip(SKIP_1) | instid1(VALU_DEP_1)
	v_cndmask_b32_e64 v10, v10, v14, s1
	v_add_nc_u32_e32 v14, 1, v11
	v_cndmask_b32_e64 v11, v11, v14, s1
	s_delay_alu instid0(VALU_DEP_3) | instskip(NEXT) | instid1(VALU_DEP_2)
	v_cmp_le_u32_e64 s1, s88, v10
	v_add_nc_u32_e32 v14, 1, v11
	s_delay_alu instid0(VALU_DEP_1) | instskip(SKIP_1) | instid1(VALU_DEP_1)
	v_cndmask_b32_e64 v10, v11, v14, s1
	v_ashrrev_i32_e32 v11, 31, v13
	v_xor_b32_e32 v11, s94, v11
	s_delay_alu instid0(VALU_DEP_1) | instskip(NEXT) | instid1(VALU_DEP_1)
	v_xor_b32_e32 v10, v10, v11
	v_sub_nc_u32_e32 v10, v10, v11
	s_delay_alu instid0(VALU_DEP_1) | instskip(SKIP_1) | instid1(VALU_DEP_2)
	v_mul_lo_u32 v11, v10, s48
	v_cmp_gt_i32_e64 s38, s57, v10
	v_cmp_eq_u32_e64 s18, v11, v13
	v_sub_nc_u32_e32 v11, 0, v12
	s_delay_alu instid0(VALU_DEP_2) | instskip(NEXT) | instid1(VALU_DEP_1)
	s_and_b32 s69, s18, s15
	v_max_i32_e32 v11, v12, v11
	s_and_b32 s83, s18, s26
	s_delay_alu instid0(VALU_DEP_1) | instskip(NEXT) | instid1(VALU_DEP_1)
	v_mul_hi_u32 v13, v11, v64
	v_mul_lo_u32 v14, v13, s88
	s_delay_alu instid0(VALU_DEP_1) | instskip(NEXT) | instid1(VALU_DEP_1)
	v_sub_nc_u32_e32 v11, v11, v14
	v_subrev_nc_u32_e32 v14, s88, v11
	v_cmp_le_u32_e64 s1, s88, v11
	s_delay_alu instid0(VALU_DEP_1) | instskip(SKIP_1) | instid1(VALU_DEP_1)
	v_cndmask_b32_e64 v11, v11, v14, s1
	v_add_nc_u32_e32 v14, 1, v13
	v_cndmask_b32_e64 v13, v13, v14, s1
	s_delay_alu instid0(VALU_DEP_3) | instskip(NEXT) | instid1(VALU_DEP_2)
	v_cmp_le_u32_e64 s1, s88, v11
	v_add_nc_u32_e32 v14, 1, v13
	s_delay_alu instid0(VALU_DEP_1) | instskip(SKIP_2) | instid1(VALU_DEP_2)
	v_cndmask_b32_e64 v11, v13, v14, s1
	v_ashrrev_i32_e32 v13, 31, v12
	v_readlane_b32 s1, v130, 12
	v_xor_b32_e32 v13, s94, v13
	s_delay_alu instid0(VALU_DEP_1) | instskip(NEXT) | instid1(VALU_DEP_1)
	v_xor_b32_e32 v11, v11, v13
	v_sub_nc_u32_e32 v13, v11, v13
	s_delay_alu instid0(VALU_DEP_1) | instskip(SKIP_1) | instid1(VALU_DEP_2)
	v_mul_lo_u32 v11, v13, s48
	v_cmp_gt_i32_e64 s36, s57, v13
	v_cmp_eq_u32_e64 s8, v11, v12
	v_subrev_nc_u32_e32 v11, s1, v12
	s_delay_alu instid0(VALU_DEP_2) | instskip(NEXT) | instid1(VALU_DEP_1)
	s_and_b32 s56, s8, s21
	v_sub_nc_u32_e32 v12, 0, v11
	s_delay_alu instid0(VALU_DEP_1) | instskip(NEXT) | instid1(VALU_DEP_1)
	v_max_i32_e32 v12, v11, v12
	v_mul_hi_u32 v14, v12, v64
	s_delay_alu instid0(VALU_DEP_1) | instskip(NEXT) | instid1(VALU_DEP_1)
	v_mul_lo_u32 v15, v14, s88
	v_sub_nc_u32_e32 v12, v12, v15
	s_delay_alu instid0(VALU_DEP_1) | instskip(SKIP_1) | instid1(VALU_DEP_1)
	v_subrev_nc_u32_e32 v15, s88, v12
	v_cmp_le_u32_e64 s1, s88, v12
	v_cndmask_b32_e64 v12, v12, v15, s1
	v_add_nc_u32_e32 v15, 1, v14
	s_delay_alu instid0(VALU_DEP_1) | instskip(NEXT) | instid1(VALU_DEP_3)
	v_cndmask_b32_e64 v14, v14, v15, s1
	v_cmp_le_u32_e64 s1, s88, v12
	s_delay_alu instid0(VALU_DEP_2) | instskip(NEXT) | instid1(VALU_DEP_1)
	v_add_nc_u32_e32 v15, 1, v14
	v_cndmask_b32_e64 v12, v14, v15, s1
	v_ashrrev_i32_e32 v14, 31, v11
	s_delay_alu instid0(VALU_DEP_1) | instskip(NEXT) | instid1(VALU_DEP_1)
	v_xor_b32_e32 v14, s94, v14
	v_xor_b32_e32 v12, v12, v14
	s_delay_alu instid0(VALU_DEP_1) | instskip(NEXT) | instid1(VALU_DEP_1)
	v_sub_nc_u32_e32 v14, v12, v14
	v_mul_lo_u32 v12, v14, s48
	v_cmp_gt_i32_e64 s28, s57, v14
	s_delay_alu instid0(VALU_DEP_2) | instskip(SKIP_1) | instid1(VALU_DEP_1)
	v_cmp_eq_u32_e64 s27, v12, v11
	v_mul_lo_u32 v11, s70, v71
	v_ashrrev_i32_e32 v12, 31, v11
	s_delay_alu instid0(VALU_DEP_1) | instskip(NEXT) | instid1(VALU_DEP_1)
	v_lshlrev_b64 v[11:12], 1, v[11:12]
	v_add_co_u32 v72, s1, s4, v11
	v_or_b32_e32 v11, v4, v9
	s_delay_alu instid0(VALU_DEP_3) | instskip(NEXT) | instid1(VALU_DEP_2)
	v_add_co_ci_u32_e64 v73, s1, s5, v12, s1
	v_or_b32_e32 v12, v11, v13
	s_delay_alu instid0(VALU_DEP_1) | instskip(SKIP_1) | instid1(VALU_DEP_2)
	v_cmp_lt_i32_e64 s1, -1, v12
	v_or_b32_e32 v12, v5, v9
	s_and_b32 s1, s42, s1
	s_delay_alu instid0(VALU_DEP_1) | instskip(SKIP_1) | instid1(SALU_CYCLE_1)
	v_or_b32_e32 v15, v12, v13
	s_and_b32 s1, s1, s37
	s_and_b32 s99, s1, s36
	s_delay_alu instid0(VALU_DEP_1) | instskip(SKIP_1) | instid1(VALU_DEP_2)
	v_cmp_lt_i32_e64 s3, -1, v15
	v_or_b32_e32 v15, v6, v9
	s_and_b32 s1, s43, s3
	s_delay_alu instid0(VALU_DEP_1) | instskip(SKIP_3) | instid1(VALU_DEP_1)
	v_or_b32_e32 v16, v15, v13
	s_and_b32 s3, s1, s37
	s_and_b32 s1, s56, vcc_lo
	s_and_b32 s100, s3, s36
	v_cmp_lt_i32_e64 s4, -1, v16
	v_or_b32_e32 v16, v4, v7
	s_delay_alu instid0(VALU_DEP_2) | instskip(NEXT) | instid1(VALU_DEP_1)
	s_and_b32 s3, s44, s4
	v_or_b32_e32 v17, v16, v13
	s_and_b32 s4, s3, s37
	s_and_b32 s3, s56, s2
	;; [unrolled: 1-line block ×4, first 2 shown]
	v_cmp_lt_i32_e64 s5, -1, v17
	v_or_b32_e32 v17, v5, v7
	s_and_b32 s56, s8, s15
	s_delay_alu instid0(VALU_DEP_2) | instskip(NEXT) | instid1(VALU_DEP_1)
	s_and_b32 s5, s42, s5
	v_or_b32_e32 v18, v17, v13
	s_and_b32 s5, s5, s34
	s_delay_alu instid0(SALU_CYCLE_1) | instskip(NEXT) | instid1(VALU_DEP_1)
	s_and_b32 s102, s5, s36
	v_cmp_lt_i32_e64 s6, -1, v18
	v_or_b32_e32 v18, v6, v7
	s_delay_alu instid0(VALU_DEP_2) | instskip(NEXT) | instid1(VALU_DEP_1)
	s_and_b32 s5, s43, s6
	v_or_b32_e32 v19, v18, v13
	s_and_b32 s6, s5, s34
	s_and_b32 s5, s56, vcc_lo
	s_and_b32 s103, s6, s36
	s_delay_alu instid0(VALU_DEP_1) | instskip(SKIP_1) | instid1(VALU_DEP_2)
	v_cmp_lt_i32_e64 s7, -1, v19
	v_or_b32_e32 v19, v4, v8
	s_and_b32 s6, s44, s7
	s_delay_alu instid0(VALU_DEP_1)
	v_or_b32_e32 v20, v19, v13
	s_and_b32 s7, s6, s34
	s_and_b32 s6, s56, s2
	;; [unrolled: 1-line block ×4, first 2 shown]
	v_cmp_lt_i32_e64 s9, -1, v20
	v_or_b32_e32 v20, v5, v8
	s_and_b32 s56, s8, s26
	s_and_b32 s26, s27, s26
	s_delay_alu instid0(VALU_DEP_2) | instskip(NEXT) | instid1(VALU_DEP_1)
	s_and_b32 s9, s42, s9
	v_or_b32_e32 v21, v20, v13
	s_and_b32 s9, s9, s29
	s_delay_alu instid0(SALU_CYCLE_1) | instskip(NEXT) | instid1(VALU_DEP_1)
	s_and_b32 vcc_hi, s9, s36
	v_cmp_lt_i32_e64 s10, -1, v21
	v_or_b32_e32 v21, v6, v8
	s_delay_alu instid0(VALU_DEP_2) | instskip(NEXT) | instid1(VALU_DEP_1)
	s_and_b32 s8, s43, s10
	v_or_b32_e32 v22, v21, v13
	s_and_b32 s9, s8, s29
	s_and_b32 s8, s56, vcc_lo
	s_and_b32 s80, s9, s36
	s_delay_alu instid0(VALU_DEP_1) | instskip(SKIP_2) | instid1(VALU_DEP_3)
	v_cmp_lt_i32_e64 s35, -1, v22
	v_or_b32_e32 v22, v11, v10
	v_or_b32_e32 v11, v11, v14
	s_and_b32 s9, s44, s35
	s_delay_alu instid0(VALU_DEP_2) | instskip(SKIP_1) | instid1(VALU_DEP_3)
	v_cmp_lt_i32_e64 s31, -1, v22
	v_or_b32_e32 v22, v12, v10
	v_cmp_lt_i32_e64 s22, -1, v11
	v_or_b32_e32 v11, v12, v14
	v_or_b32_e32 v12, v19, v14
	s_and_b32 s10, s9, s29
	v_cmp_lt_i32_e64 s11, -1, v22
	v_or_b32_e32 v22, v15, v10
	v_cmp_lt_i32_e64 s23, -1, v11
	v_or_b32_e32 v11, v15, v14
	v_or_b32_e32 v15, v21, v14
	s_and_b32 s22, s75, s22
	v_cmp_lt_i32_e64 s12, -1, v22
	v_or_b32_e32 v22, v16, v10
	v_cmp_lt_i32_e64 s24, -1, v11
	v_or_b32_e32 v11, v16, v14
	v_cmp_lt_i32_e64 s41, -1, v15
	s_and_b32 s9, s56, s2
	v_cmp_lt_i32_e64 s13, -1, v22
	v_or_b32_e32 v22, v17, v10
	v_cmp_lt_i32_e64 s25, -1, v11
	v_or_b32_e32 v11, v17, v14
	s_and_b32 s35, s10, s36
	s_and_b32 s10, s56, s0
	v_cmp_lt_i32_e64 s14, -1, v22
	v_or_b32_e32 v22, v18, v10
	v_cmp_lt_i32_e64 s30, -1, v11
	v_or_b32_e32 v11, v18, v14
	s_and_b32 s31, s75, s31
	s_and_b32 s56, s18, s21
	v_cmp_lt_i32_e64 s16, -1, v22
	v_or_b32_e32 v22, v19, v10
	v_cmp_lt_i32_e64 s33, -1, v11
	v_mul_lo_u32 v11, v13, s58
	v_or_b32_e32 v13, v20, v14
	v_mul_lo_u32 v14, v14, s58
	v_cmp_lt_i32_e64 s17, -1, v22
	v_or_b32_e32 v22, v20, v10
	s_and_b32 s68, s42, s13
	v_cmp_lt_i32_e64 s40, -1, v13
	s_and_b32 s75, s22, s28
	v_add_nc_u32_e32 v16, v9, v11
	v_cmp_lt_i32_e64 s20, -1, v22
	v_or_b32_e32 v22, v21, v10
	v_mul_lo_u32 v10, v10, s58
	v_add_nc_u32_e32 v17, v7, v11
	v_add_nc_u32_e32 v18, v8, v11
	;; [unrolled: 1-line block ×5, first 2 shown]
	v_mul_lo_u32 v11, v16, s59
	v_mul_lo_u32 v17, v17, s59
	v_add_nc_u32_e32 v23, v9, v10
	v_add_nc_u32_e32 v29, v7, v10
	;; [unrolled: 1-line block ×3, first 2 shown]
	v_mul_lo_u32 v24, v18, s59
	v_mul_lo_u32 v48, v41, s59
	;; [unrolled: 1-line block ×7, first 2 shown]
	v_add_nc_u32_e32 v7, v4, v11
	v_add_nc_u32_e32 v9, v5, v11
	v_add_nc_u32_e32 v11, v6, v11
	v_add_nc_u32_e32 v13, v4, v17
	v_add_nc_u32_e32 v15, v5, v17
	v_add_nc_u32_e32 v17, v6, v17
	v_add_nc_u32_e32 v19, v4, v24
	v_add_nc_u32_e32 v21, v5, v24
	v_add_nc_u32_e32 v23, v6, v24
	v_add_nc_u32_e32 v25, v4, v30
	v_add_nc_u32_e32 v27, v5, v30
	v_add_nc_u32_e32 v29, v6, v30
	v_add_nc_u32_e32 v31, v4, v36
	v_add_nc_u32_e32 v33, v5, v36
	v_add_nc_u32_e32 v35, v6, v36
	v_add_nc_u32_e32 v37, v4, v42
	v_add_nc_u32_e32 v39, v5, v42
	v_add_nc_u32_e32 v41, v6, v42
	v_add_nc_u32_e32 v43, v4, v48
	s_and_b32 s22, s81, s23
	v_add_nc_u32_e32 v45, v5, v48
	s_and_b32 s23, s82, s24
	v_add_nc_u32_e32 v47, v6, v48
	;; [unrolled: 2-line block ×3, first 2 shown]
	v_add_nc_u32_e32 v51, v5, v54
	v_add_nc_u32_e32 v53, v6, v54
	;; [unrolled: 1-line block ×4, first 2 shown]
	s_and_b32 s36, s81, s11
	s_and_b32 s11, s56, vcc_lo
	s_and_b32 s37, s82, s12
	s_and_b32 s12, s56, s2
	;; [unrolled: 1-line block ×8, first 2 shown]
	v_add_nc_u32_e32 v74, v6, v58
	v_cmp_lt_i32_e64 s19, -1, v22
	v_cmp_lt_i32_e64 s39, -1, v12
	s_and_b32 s79, s56, s38
	s_and_b32 s56, s14, s34
	;; [unrolled: 1-line block ×5, first 2 shown]
	v_ashrrev_i32_e32 v8, 31, v7
	v_ashrrev_i32_e32 v10, 31, v9
	;; [unrolled: 1-line block ×26, first 2 shown]
	s_and_b32 s97, s56, s38
	s_and_b32 s56, s16, s34
	;; [unrolled: 1-line block ×5, first 2 shown]
	v_ashrrev_i32_e32 v75, 31, v74
	s_and_b32 s68, s56, s38
	s_and_b32 s56, s42, s17
	;; [unrolled: 1-line block ×10, first 2 shown]
	v_lshlrev_b64 v[4:5], 1, v[7:8]
	v_lshlrev_b64 v[6:7], 1, v[9:10]
	;; [unrolled: 1-line block ×26, first 2 shown]
	v_mul_lo_u32 v58, s45, v69
	s_and_b32 s31, s31, s38
	s_and_b32 s36, s36, s38
	;; [unrolled: 1-line block ×3, first 2 shown]
	s_and_b32 s14, s69, vcc_lo
	s_and_b32 s16, s69, s2
	s_and_b32 s17, s69, s0
	;; [unrolled: 1-line block ×3, first 2 shown]
	s_and_b32 s18, s83, vcc_lo
	s_and_b32 s19, s83, s2
	s_and_b32 s38, s20, s38
	;; [unrolled: 1-line block ×7, first 2 shown]
	v_lshlrev_b64 v[56:57], 1, v[74:75]
	v_mov_b32_e32 v74, 0
	s_and_b32 s34, s34, s29
	s_and_b32 s29, s39, s29
	s_and_b32 s21, s83, vcc_lo
	s_and_b32 s56, s22, s28
	s_and_b32 s22, s83, s2
	;; [unrolled: 1-line block ×4, first 2 shown]
	s_and_b32 s15, s25, vcc_lo
	s_and_b32 s24, s25, s2
	s_and_b32 s33, s33, s28
	;; [unrolled: 1-line block ×3, first 2 shown]
	s_mov_b64 s[42:43], s[64:65]
	s_mov_b32 s40, s72
	s_and_b32 vcc_lo, s26, vcc_lo
	s_and_b32 s34, s34, s28
	s_mov_b32 s44, s73
	s_mov_b32 s73, s66
	s_and_b32 s2, s26, s2
	s_and_b32 s28, s29, s28
	;; [unrolled: 1-line block ×3, first 2 shown]
	s_mov_b32 s29, s91
	s_branch .LBB25_6
.LBB25_5:                               ;   in Loop: Header=BB25_6 Depth=2
	s_or_b32 exec_lo, exec_lo, s39
	s_waitcnt vmcnt(26)
	v_fma_mix_f32 v59, v59, v75, v74 op_sel_hi:[0,1,0]
	v_add_co_u32 v0, s26, v0, 54
	s_delay_alu instid0(VALU_DEP_1) | instskip(NEXT) | instid1(VALU_DEP_3)
	v_add_co_ci_u32_e64 v1, s26, 0, v1, s26
	v_cndmask_b32_e64 v59, v74, v59, s1
	v_add_nc_u32_e32 v58, s71, v58
	s_add_i32 s29, s29, -1
	s_delay_alu instid0(SALU_CYCLE_1) | instskip(SKIP_2) | instid1(VALU_DEP_1)
	s_cmp_eq_u32 s29, 0
	s_waitcnt vmcnt(25)
	v_fma_mix_f32 v74, v80, v78, v59 op_sel_hi:[0,1,0]
	v_cndmask_b32_e64 v59, v59, v74, s3
	s_waitcnt vmcnt(24)
	s_delay_alu instid0(VALU_DEP_1) | instskip(NEXT) | instid1(VALU_DEP_1)
	v_fma_mix_f32 v74, v79, v81, v59 op_sel_hi:[0,1,0]
	v_cndmask_b32_e64 v59, v59, v74, s4
	s_waitcnt vmcnt(23)
	s_delay_alu instid0(VALU_DEP_1) | instskip(NEXT) | instid1(VALU_DEP_1)
	;; [unrolled: 4-line block ×23, first 2 shown]
	v_fma_mix_f32 v74, v123, v125, v59 op_sel_hi:[0,1,0]
	v_cndmask_b32_e32 v59, v59, v74, vcc_lo
	s_waitcnt vmcnt(1)
	s_delay_alu instid0(VALU_DEP_1) | instskip(NEXT) | instid1(VALU_DEP_1)
	v_fma_mix_f32 v74, v128, v127, v59 op_sel_hi:[0,1,0]
	v_cndmask_b32_e64 v59, v59, v74, s2
	s_waitcnt vmcnt(0)
	s_delay_alu instid0(VALU_DEP_1) | instskip(NEXT) | instid1(VALU_DEP_1)
	v_fma_mix_f32 v74, v126, v129, v59 op_sel_hi:[0,1,0]
	v_cndmask_b32_e64 v74, v59, v74, s0
	s_cbranch_scc1 .LBB25_2
.LBB25_6:                               ;   Parent Loop BB25_3 Depth=1
                                        ; =>  This Inner Loop Header: Depth=2
	global_load_u16 v75, v[0:1], off
	v_ashrrev_i32_e32 v59, 31, v58
	s_delay_alu instid0(VALU_DEP_1) | instskip(SKIP_1) | instid1(VALU_DEP_2)
	v_lshlrev_b64 v[76:77], 1, v[58:59]
	v_mov_b32_e32 v59, 0
	v_add_co_u32 v76, s26, v72, v76
	s_delay_alu instid0(VALU_DEP_1)
	v_add_co_ci_u32_e64 v77, s26, v73, v77, s26
	s_and_saveexec_b32 s39, s99
	s_cbranch_execz .LBB25_8
; %bb.7:                                ;   in Loop: Header=BB25_6 Depth=2
	s_delay_alu instid0(VALU_DEP_2) | instskip(NEXT) | instid1(VALU_DEP_1)
	v_add_co_u32 v78, s26, v76, v4
	v_add_co_ci_u32_e64 v79, s26, v77, v5, s26
	global_load_u16 v59, v[78:79], off
	s_waitcnt vmcnt(0)
	v_cvt_f32_f16_e32 v59, v59
.LBB25_8:                               ;   in Loop: Header=BB25_6 Depth=2
	s_or_b32 exec_lo, exec_lo, s39
	global_load_u16 v78, v[0:1], off offset:2
	v_dual_mov_b32 v79, 0 :: v_dual_mov_b32 v80, 0
	s_and_saveexec_b32 s39, s100
	s_cbranch_execz .LBB25_10
; %bb.9:                                ;   in Loop: Header=BB25_6 Depth=2
	v_add_co_u32 v80, s26, v76, v6
	s_delay_alu instid0(VALU_DEP_1)
	v_add_co_ci_u32_e64 v81, s26, v77, v7, s26
	global_load_u16 v80, v[80:81], off
	s_waitcnt vmcnt(0)
	v_cvt_f32_f16_e32 v80, v80
.LBB25_10:                              ;   in Loop: Header=BB25_6 Depth=2
	s_or_b32 exec_lo, exec_lo, s39
	global_load_u16 v81, v[0:1], off offset:4
	s_and_saveexec_b32 s39, s101
	s_cbranch_execz .LBB25_12
; %bb.11:                               ;   in Loop: Header=BB25_6 Depth=2
	v_add_co_u32 v82, s26, v76, v8
	s_delay_alu instid0(VALU_DEP_1)
	v_add_co_ci_u32_e64 v83, s26, v77, v9, s26
	global_load_u16 v79, v[82:83], off
	s_waitcnt vmcnt(0)
	v_cvt_f32_f16_e32 v79, v79
.LBB25_12:                              ;   in Loop: Header=BB25_6 Depth=2
	s_or_b32 exec_lo, exec_lo, s39
	global_load_u16 v82, v[0:1], off offset:6
	v_dual_mov_b32 v83, 0 :: v_dual_mov_b32 v84, 0
	s_and_saveexec_b32 s39, s102
	s_cbranch_execz .LBB25_14
; %bb.13:                               ;   in Loop: Header=BB25_6 Depth=2
	v_add_co_u32 v84, s26, v76, v10
	s_delay_alu instid0(VALU_DEP_1)
	v_add_co_ci_u32_e64 v85, s26, v77, v11, s26
	global_load_u16 v84, v[84:85], off
	s_waitcnt vmcnt(0)
	v_cvt_f32_f16_e32 v84, v84
.LBB25_14:                              ;   in Loop: Header=BB25_6 Depth=2
	s_or_b32 exec_lo, exec_lo, s39
	global_load_u16 v85, v[0:1], off offset:8
	s_and_saveexec_b32 s39, s103
	s_cbranch_execz .LBB25_16
; %bb.15:                               ;   in Loop: Header=BB25_6 Depth=2
	v_add_co_u32 v86, s26, v76, v12
	s_delay_alu instid0(VALU_DEP_1)
	v_add_co_ci_u32_e64 v87, s26, v77, v13, s26
	global_load_u16 v83, v[86:87], off
	s_waitcnt vmcnt(0)
	v_cvt_f32_f16_e32 v83, v83
.LBB25_16:                              ;   in Loop: Header=BB25_6 Depth=2
	s_or_b32 exec_lo, exec_lo, s39
	global_load_u16 v86, v[0:1], off offset:10
	v_dual_mov_b32 v87, 0 :: v_dual_mov_b32 v88, 0
	s_and_saveexec_b32 s39, s104
	s_cbranch_execz .LBB25_18
; %bb.17:                               ;   in Loop: Header=BB25_6 Depth=2
	v_add_co_u32 v88, s26, v76, v14
	s_delay_alu instid0(VALU_DEP_1)
	v_add_co_ci_u32_e64 v89, s26, v77, v15, s26
	global_load_u16 v88, v[88:89], off
	s_waitcnt vmcnt(0)
	v_cvt_f32_f16_e32 v88, v88
.LBB25_18:                              ;   in Loop: Header=BB25_6 Depth=2
	s_or_b32 exec_lo, exec_lo, s39
	global_load_u16 v89, v[0:1], off offset:12
	s_and_saveexec_b32 s39, vcc_hi
	s_cbranch_execz .LBB25_20
; %bb.19:                               ;   in Loop: Header=BB25_6 Depth=2
	v_add_co_u32 v90, s26, v76, v16
	s_delay_alu instid0(VALU_DEP_1)
	v_add_co_ci_u32_e64 v91, s26, v77, v17, s26
	global_load_u16 v87, v[90:91], off
	s_waitcnt vmcnt(0)
	v_cvt_f32_f16_e32 v87, v87
.LBB25_20:                              ;   in Loop: Header=BB25_6 Depth=2
	s_or_b32 exec_lo, exec_lo, s39
	global_load_u16 v90, v[0:1], off offset:14
	v_dual_mov_b32 v91, 0 :: v_dual_mov_b32 v92, 0
	s_and_saveexec_b32 s39, s80
	s_cbranch_execz .LBB25_22
; %bb.21:                               ;   in Loop: Header=BB25_6 Depth=2
	v_add_co_u32 v92, s26, v76, v18
	s_delay_alu instid0(VALU_DEP_1)
	v_add_co_ci_u32_e64 v93, s26, v77, v19, s26
	global_load_u16 v92, v[92:93], off
	s_waitcnt vmcnt(0)
	v_cvt_f32_f16_e32 v92, v92
.LBB25_22:                              ;   in Loop: Header=BB25_6 Depth=2
	s_or_b32 exec_lo, exec_lo, s39
	global_load_u16 v93, v[0:1], off offset:16
	s_and_saveexec_b32 s39, s35
	s_cbranch_execz .LBB25_24
; %bb.23:                               ;   in Loop: Header=BB25_6 Depth=2
	v_add_co_u32 v94, s26, v76, v20
	s_delay_alu instid0(VALU_DEP_1)
	v_add_co_ci_u32_e64 v95, s26, v77, v21, s26
	global_load_u16 v91, v[94:95], off
	s_waitcnt vmcnt(0)
	v_cvt_f32_f16_e32 v91, v91
.LBB25_24:                              ;   in Loop: Header=BB25_6 Depth=2
	s_or_b32 exec_lo, exec_lo, s39
	global_load_u16 v94, v[0:1], off offset:18
	v_dual_mov_b32 v95, 0 :: v_dual_mov_b32 v96, 0
	s_and_saveexec_b32 s39, s31
	s_cbranch_execz .LBB25_26
; %bb.25:                               ;   in Loop: Header=BB25_6 Depth=2
	v_add_co_u32 v96, s26, v76, v22
	s_delay_alu instid0(VALU_DEP_1)
	v_add_co_ci_u32_e64 v97, s26, v77, v23, s26
	global_load_u16 v96, v[96:97], off
	s_waitcnt vmcnt(0)
	v_cvt_f32_f16_e32 v96, v96
.LBB25_26:                              ;   in Loop: Header=BB25_6 Depth=2
	s_or_b32 exec_lo, exec_lo, s39
	global_load_u16 v97, v[0:1], off offset:20
	s_and_saveexec_b32 s39, s36
	;; [unrolled: 25-line block ×9, first 2 shown]
	s_cbranch_execz .LBB25_56
; %bb.55:                               ;   in Loop: Header=BB25_6 Depth=2
	v_add_co_u32 v126, s26, v76, v52
	s_delay_alu instid0(VALU_DEP_1)
	v_add_co_ci_u32_e64 v127, s26, v77, v53, s26
	global_load_u16 v123, v[126:127], off
	s_waitcnt vmcnt(0)
	v_cvt_f32_f16_e32 v123, v123
.LBB25_56:                              ;   in Loop: Header=BB25_6 Depth=2
	s_or_b32 exec_lo, exec_lo, s39
	global_load_u16 v127, v[0:1], off offset:50
	v_mov_b32_e32 v126, 0
	v_mov_b32_e32 v128, 0
	s_and_saveexec_b32 s39, s34
	s_cbranch_execz .LBB25_58
; %bb.57:                               ;   in Loop: Header=BB25_6 Depth=2
	v_add_co_u32 v128, s26, v76, v54
	s_delay_alu instid0(VALU_DEP_1)
	v_add_co_ci_u32_e64 v129, s26, v77, v55, s26
	global_load_u16 v128, v[128:129], off
	s_waitcnt vmcnt(0)
	v_cvt_f32_f16_e64 v128, v128
.LBB25_58:                              ;   in Loop: Header=BB25_6 Depth=2
	s_or_b32 exec_lo, exec_lo, s39
	global_load_u16 v129, v[0:1], off offset:52
	s_and_saveexec_b32 s39, s28
	s_cbranch_execz .LBB25_5
; %bb.59:                               ;   in Loop: Header=BB25_6 Depth=2
	v_add_co_u32 v76, s26, v76, v56
	s_delay_alu instid0(VALU_DEP_1)
	v_add_co_ci_u32_e64 v77, s26, v77, v57, s26
	global_load_u16 v76, v[76:77], off
	s_waitcnt vmcnt(0)
	v_cvt_f32_f16_e32 v126, v76
	s_branch .LBB25_5
.LBB25_60:
	s_nop 0
	s_sendmsg sendmsg(MSG_DEALLOC_VGPRS)
	s_endpgm
	.section	.rodata,"a",@progbits
	.p2align	6, 0x0
	.amdhsa_kernel _ZN2at6native12_GLOBAL__N_143conv_depthwise3d_cuda_backward_input_kernelIN3c104HalfEfLi3ELi3ELi3ELin1ELin1ELin1ELin1ELin1ELin1EEEvN5torch10headeronly6detail27GenericPackedTensorAccessorINS7_14TensorAccessorINS3_8ArrayRefIlEEKT_Lm4ENS6_16DefaultPtrTraitsEiEENS_6detail16IndexBoundsCheckILm5EiEESD_Lm5ESE_iEENS8_INS9_ISB_SC_Lm4ESE_iEESI_SC_Lm5ESE_iEESJ_iiiiiiiii
		.amdhsa_group_segment_fixed_size 0
		.amdhsa_private_segment_fixed_size 0
		.amdhsa_kernarg_size 440
		.amdhsa_user_sgpr_count 15
		.amdhsa_user_sgpr_dispatch_ptr 0
		.amdhsa_user_sgpr_queue_ptr 0
		.amdhsa_user_sgpr_kernarg_segment_ptr 1
		.amdhsa_user_sgpr_dispatch_id 0
		.amdhsa_user_sgpr_private_segment_size 0
		.amdhsa_wavefront_size32 1
		.amdhsa_uses_dynamic_stack 0
		.amdhsa_enable_private_segment 0
		.amdhsa_system_sgpr_workgroup_id_x 1
		.amdhsa_system_sgpr_workgroup_id_y 0
		.amdhsa_system_sgpr_workgroup_id_z 0
		.amdhsa_system_sgpr_workgroup_info 0
		.amdhsa_system_vgpr_workitem_id 0
		.amdhsa_next_free_vgpr 131
		.amdhsa_next_free_sgpr 105
		.amdhsa_reserve_vcc 1
		.amdhsa_float_round_mode_32 0
		.amdhsa_float_round_mode_16_64 0
		.amdhsa_float_denorm_mode_32 3
		.amdhsa_float_denorm_mode_16_64 3
		.amdhsa_dx10_clamp 1
		.amdhsa_ieee_mode 1
		.amdhsa_fp16_overflow 0
		.amdhsa_workgroup_processor_mode 1
		.amdhsa_memory_ordered 1
		.amdhsa_forward_progress 0
		.amdhsa_shared_vgpr_count 0
		.amdhsa_exception_fp_ieee_invalid_op 0
		.amdhsa_exception_fp_denorm_src 0
		.amdhsa_exception_fp_ieee_div_zero 0
		.amdhsa_exception_fp_ieee_overflow 0
		.amdhsa_exception_fp_ieee_underflow 0
		.amdhsa_exception_fp_ieee_inexact 0
		.amdhsa_exception_int_div_zero 0
	.end_amdhsa_kernel
	.section	.text._ZN2at6native12_GLOBAL__N_143conv_depthwise3d_cuda_backward_input_kernelIN3c104HalfEfLi3ELi3ELi3ELin1ELin1ELin1ELin1ELin1ELin1EEEvN5torch10headeronly6detail27GenericPackedTensorAccessorINS7_14TensorAccessorINS3_8ArrayRefIlEEKT_Lm4ENS6_16DefaultPtrTraitsEiEENS_6detail16IndexBoundsCheckILm5EiEESD_Lm5ESE_iEENS8_INS9_ISB_SC_Lm4ESE_iEESI_SC_Lm5ESE_iEESJ_iiiiiiiii,"axG",@progbits,_ZN2at6native12_GLOBAL__N_143conv_depthwise3d_cuda_backward_input_kernelIN3c104HalfEfLi3ELi3ELi3ELin1ELin1ELin1ELin1ELin1ELin1EEEvN5torch10headeronly6detail27GenericPackedTensorAccessorINS7_14TensorAccessorINS3_8ArrayRefIlEEKT_Lm4ENS6_16DefaultPtrTraitsEiEENS_6detail16IndexBoundsCheckILm5EiEESD_Lm5ESE_iEENS8_INS9_ISB_SC_Lm4ESE_iEESI_SC_Lm5ESE_iEESJ_iiiiiiiii,comdat
.Lfunc_end25:
	.size	_ZN2at6native12_GLOBAL__N_143conv_depthwise3d_cuda_backward_input_kernelIN3c104HalfEfLi3ELi3ELi3ELin1ELin1ELin1ELin1ELin1ELin1EEEvN5torch10headeronly6detail27GenericPackedTensorAccessorINS7_14TensorAccessorINS3_8ArrayRefIlEEKT_Lm4ENS6_16DefaultPtrTraitsEiEENS_6detail16IndexBoundsCheckILm5EiEESD_Lm5ESE_iEENS8_INS9_ISB_SC_Lm4ESE_iEESI_SC_Lm5ESE_iEESJ_iiiiiiiii, .Lfunc_end25-_ZN2at6native12_GLOBAL__N_143conv_depthwise3d_cuda_backward_input_kernelIN3c104HalfEfLi3ELi3ELi3ELin1ELin1ELin1ELin1ELin1ELin1EEEvN5torch10headeronly6detail27GenericPackedTensorAccessorINS7_14TensorAccessorINS3_8ArrayRefIlEEKT_Lm4ENS6_16DefaultPtrTraitsEiEENS_6detail16IndexBoundsCheckILm5EiEESD_Lm5ESE_iEENS8_INS9_ISB_SC_Lm4ESE_iEESI_SC_Lm5ESE_iEESJ_iiiiiiiii
                                        ; -- End function
	.section	.AMDGPU.csdata,"",@progbits
; Kernel info:
; codeLenInByte = 6888
; NumSgprs: 107
; NumVgprs: 131
; ScratchSize: 0
; MemoryBound: 0
; FloatMode: 240
; IeeeMode: 1
; LDSByteSize: 0 bytes/workgroup (compile time only)
; SGPRBlocks: 13
; VGPRBlocks: 16
; NumSGPRsForWavesPerEU: 107
; NumVGPRsForWavesPerEU: 131
; Occupancy: 10
; WaveLimiterHint : 0
; COMPUTE_PGM_RSRC2:SCRATCH_EN: 0
; COMPUTE_PGM_RSRC2:USER_SGPR: 15
; COMPUTE_PGM_RSRC2:TRAP_HANDLER: 0
; COMPUTE_PGM_RSRC2:TGID_X_EN: 1
; COMPUTE_PGM_RSRC2:TGID_Y_EN: 0
; COMPUTE_PGM_RSRC2:TGID_Z_EN: 0
; COMPUTE_PGM_RSRC2:TIDIG_COMP_CNT: 0
	.section	.text._ZN2at6native12_GLOBAL__N_143conv_depthwise3d_cuda_backward_input_kernelIN3c104HalfEfLin1ELin1ELin1ELin1ELin1ELin1ELin1ELin1ELin1EEEvN5torch10headeronly6detail27GenericPackedTensorAccessorINS7_14TensorAccessorINS3_8ArrayRefIlEEKT_Lm4ENS6_16DefaultPtrTraitsEiEENS_6detail16IndexBoundsCheckILm5EiEESD_Lm5ESE_iEENS8_INS9_ISB_SC_Lm4ESE_iEESI_SC_Lm5ESE_iEESJ_iiiiiiiii,"axG",@progbits,_ZN2at6native12_GLOBAL__N_143conv_depthwise3d_cuda_backward_input_kernelIN3c104HalfEfLin1ELin1ELin1ELin1ELin1ELin1ELin1ELin1ELin1EEEvN5torch10headeronly6detail27GenericPackedTensorAccessorINS7_14TensorAccessorINS3_8ArrayRefIlEEKT_Lm4ENS6_16DefaultPtrTraitsEiEENS_6detail16IndexBoundsCheckILm5EiEESD_Lm5ESE_iEENS8_INS9_ISB_SC_Lm4ESE_iEESI_SC_Lm5ESE_iEESJ_iiiiiiiii,comdat
	.globl	_ZN2at6native12_GLOBAL__N_143conv_depthwise3d_cuda_backward_input_kernelIN3c104HalfEfLin1ELin1ELin1ELin1ELin1ELin1ELin1ELin1ELin1EEEvN5torch10headeronly6detail27GenericPackedTensorAccessorINS7_14TensorAccessorINS3_8ArrayRefIlEEKT_Lm4ENS6_16DefaultPtrTraitsEiEENS_6detail16IndexBoundsCheckILm5EiEESD_Lm5ESE_iEENS8_INS9_ISB_SC_Lm4ESE_iEESI_SC_Lm5ESE_iEESJ_iiiiiiiii ; -- Begin function _ZN2at6native12_GLOBAL__N_143conv_depthwise3d_cuda_backward_input_kernelIN3c104HalfEfLin1ELin1ELin1ELin1ELin1ELin1ELin1ELin1ELin1EEEvN5torch10headeronly6detail27GenericPackedTensorAccessorINS7_14TensorAccessorINS3_8ArrayRefIlEEKT_Lm4ENS6_16DefaultPtrTraitsEiEENS_6detail16IndexBoundsCheckILm5EiEESD_Lm5ESE_iEENS8_INS9_ISB_SC_Lm4ESE_iEESI_SC_Lm5ESE_iEESJ_iiiiiiiii
	.p2align	8
	.type	_ZN2at6native12_GLOBAL__N_143conv_depthwise3d_cuda_backward_input_kernelIN3c104HalfEfLin1ELin1ELin1ELin1ELin1ELin1ELin1ELin1ELin1EEEvN5torch10headeronly6detail27GenericPackedTensorAccessorINS7_14TensorAccessorINS3_8ArrayRefIlEEKT_Lm4ENS6_16DefaultPtrTraitsEiEENS_6detail16IndexBoundsCheckILm5EiEESD_Lm5ESE_iEENS8_INS9_ISB_SC_Lm4ESE_iEESI_SC_Lm5ESE_iEESJ_iiiiiiiii,@function
_ZN2at6native12_GLOBAL__N_143conv_depthwise3d_cuda_backward_input_kernelIN3c104HalfEfLin1ELin1ELin1ELin1ELin1ELin1ELin1ELin1ELin1EEEvN5torch10headeronly6detail27GenericPackedTensorAccessorINS7_14TensorAccessorINS3_8ArrayRefIlEEKT_Lm4ENS6_16DefaultPtrTraitsEiEENS_6detail16IndexBoundsCheckILm5EiEESD_Lm5ESE_iEENS8_INS9_ISB_SC_Lm4ESE_iEESI_SC_Lm5ESE_iEESJ_iiiiiiiii: ; @_ZN2at6native12_GLOBAL__N_143conv_depthwise3d_cuda_backward_input_kernelIN3c104HalfEfLin1ELin1ELin1ELin1ELin1ELin1ELin1ELin1ELin1EEEvN5torch10headeronly6detail27GenericPackedTensorAccessorINS7_14TensorAccessorINS3_8ArrayRefIlEEKT_Lm4ENS6_16DefaultPtrTraitsEiEENS_6detail16IndexBoundsCheckILm5EiEESD_Lm5ESE_iEENS8_INS9_ISB_SC_Lm4ESE_iEESI_SC_Lm5ESE_iEESJ_iiiiiiiii
; %bb.0:
	s_clause 0x2
	s_load_b128 s[16:19], s[0:1], 0x38
	s_load_b32 s4, s[0:1], 0xc4
	s_load_b64 s[6:7], s[0:1], 0x48
	s_mov_b32 s8, exec_lo
	s_waitcnt lgkmcnt(0)
	s_abs_i32 s33, s17
	s_add_u32 s2, s0, 0xb8
	v_cvt_f32_u32_e32 v1, s33
	s_addc_u32 s3, s1, 0
	s_and_b32 s4, s4, 0xffff
	s_mul_i32 s34, s7, s16
	s_delay_alu instid0(SALU_CYCLE_1) | instskip(SKIP_3) | instid1(VALU_DEP_1)
	s_ashr_i32 s35, s34, 31
	v_rcp_iflag_f32_e32 v2, v1
	s_waitcnt_depctr 0xfff
	v_dual_mov_b32 v1, 0 :: v_dual_mul_f32 v4, 0x4f7ffffe, v2
	v_mad_u64_u32 v[2:3], null, s4, s15, v[0:1]
	s_delay_alu instid0(VALU_DEP_2) | instskip(NEXT) | instid1(VALU_DEP_1)
	v_cvt_u32_f32_e32 v0, v4
	v_readfirstlane_b32 s5, v0
	s_delay_alu instid0(VALU_DEP_3)
	v_cmpx_gt_i64_e64 s[34:35], v[2:3]
	s_cbranch_execz .LBB26_18
; %bb.1:
	s_clause 0x1
	s_load_b128 s[20:23], s[0:1], 0xc
	s_load_b64 s[36:37], s[0:1], 0x0
	s_sub_i32 s28, 0, s33
	s_ashr_i32 s16, s17, 31
	s_mul_i32 s24, s28, s5
	s_load_b256 s[8:15], s[0:1], 0x90
	s_mul_hi_u32 s24, s5, s24
	s_load_b32 s2, s[2:3], 0x0
	s_add_i32 s5, s5, s24
	s_load_b128 s[24:27], s[0:1], 0x70
	v_mul_lo_u32 v1, s28, v0
	s_clause 0x1
	s_load_b64 s[38:39], s[0:1], 0x1c
	s_load_b64 s[40:41], s[0:1], 0x30
	s_mov_b32 s44, 0
	s_delay_alu instid0(VALU_DEP_1)
	v_mul_hi_u32 v1, v0, v1
	s_waitcnt lgkmcnt(0)
	s_abs_i32 s29, s20
	s_ashr_i32 s20, s20, 31
	s_mul_hi_u32 s5, s29, s5
	s_xor_b32 s30, s20, s16
	s_mul_i32 s27, s5, s33
	s_load_b32 s20, s[0:1], 0xb0
	s_sub_i32 s27, s29, s27
	s_add_i32 s29, s5, 1
	s_sub_i32 s31, s27, s33
	s_cmp_ge_u32 s27, s33
	s_cselect_b32 s5, s29, s5
	s_cselect_b32 s27, s31, s27
	s_add_i32 s29, s5, 1
	s_cmp_ge_u32 s27, s33
	s_load_b32 s27, s[0:1], 0x7c
	s_cselect_b32 s3, s29, s5
	s_delay_alu instid0(SALU_CYCLE_1) | instskip(NEXT) | instid1(SALU_CYCLE_1)
	s_xor_b32 s3, s3, s30
	s_sub_i32 s45, s3, s30
	s_cmp_gt_i32 s24, 0
	s_clause 0x1
	s_load_b64 s[42:43], s[0:1], 0x60
	s_load_b128 s[28:31], s[0:1], 0x50
	s_cselect_b32 s46, -1, 0
	s_cmp_gt_i32 s25, 0
	s_cselect_b32 s47, -1, 0
	s_cmp_gt_i32 s26, 0
	s_cselect_b32 s48, -1, 0
	s_abs_i32 s49, s6
	s_abs_i32 s50, s19
	v_cvt_f32_u32_e32 v4, s49
	v_cvt_f32_u32_e32 v5, s50
	s_abs_i32 s51, s18
	s_abs_i32 s52, s8
	;; [unrolled: 1-line block ×3, first 2 shown]
	v_rcp_iflag_f32_e32 v4, v4
	s_abs_i32 s54, s10
	v_cvt_f32_u32_e32 v6, s51
	v_cvt_f32_u32_e32 v7, s52
	;; [unrolled: 1-line block ×4, first 2 shown]
	v_rcp_iflag_f32_e32 v5, v5
	v_rcp_iflag_f32_e32 v6, v6
	;; [unrolled: 1-line block ×5, first 2 shown]
	v_mul_f32_e32 v4, 0x4f7ffffe, v4
	s_sub_i32 s0, 0, s49
	s_sub_i32 s1, 0, s50
	;; [unrolled: 1-line block ×4, first 2 shown]
	v_mul_f32_e32 v5, 0x4f7ffffe, v5
	v_cvt_u32_f32_e32 v4, v4
	v_dual_mul_f32 v6, 0x4f7ffffe, v6 :: v_dual_mul_f32 v7, 0x4f7ffffe, v7
	s_waitcnt_depctr 0xfff
	v_dual_mul_f32 v8, 0x4f7ffffe, v8 :: v_dual_mul_f32 v9, 0x4f7ffffe, v9
	v_mul_lo_u32 v10, s0, v4
	v_cvt_u32_f32_e32 v5, v5
	v_cvt_u32_f32_e32 v6, v6
	;; [unrolled: 1-line block ×5, first 2 shown]
	s_sub_i32 s55, 0, s53
	s_sub_i32 s56, 0, s54
	v_mul_lo_u32 v7, s1, v5
	v_mul_lo_u32 v8, s3, v6
	;; [unrolled: 1-line block ×4, first 2 shown]
	v_mul_hi_u32 v10, v4, v10
	v_mul_lo_u32 v15, s56, v13
	s_mul_i32 s55, s2, s4
	s_ashr_i32 s56, s6, 31
	v_mul_hi_u32 v7, v5, v7
	v_mul_hi_u32 v8, v6, v8
	v_mul_hi_u32 v9, v11, v9
	v_mul_hi_u32 v14, v12, v14
	v_add_nc_u32_e32 v4, v4, v10
	v_mul_hi_u32 v10, v13, v15
	s_ashr_i32 s57, s19, 31
	s_ashr_i32 s58, s18, 31
	v_add_nc_u32_e32 v5, v5, v7
	v_add_nc_u32_e32 v6, v6, v8
	;; [unrolled: 1-line block ×6, first 2 shown]
	s_ashr_i32 s59, s8, 31
	s_ashr_i32 s60, s9, 31
	;; [unrolled: 1-line block ×3, first 2 shown]
	s_branch .LBB26_4
.LBB26_2:                               ;   in Loop: Header=BB26_4 Depth=1
	s_or_b32 exec_lo, exec_lo, s63
.LBB26_3:                               ;   in Loop: Header=BB26_4 Depth=1
	s_delay_alu instid0(SALU_CYCLE_1)
	s_or_b32 exec_lo, exec_lo, s62
	v_mul_lo_u32 v0, v15, s7
	s_waitcnt lgkmcnt(0)
	v_mul_lo_u32 v13, s28, v13
	v_mul_lo_u32 v15, s29, v14
	;; [unrolled: 1-line block ×3, first 2 shown]
	v_add_co_u32 v2, vcc_lo, v2, s55
	v_add_co_ci_u32_e32 v3, vcc_lo, 0, v3, vcc_lo
	v_ashrrev_i32_e32 v1, 31, v0
	v_ashrrev_i32_e32 v14, 31, v13
	;; [unrolled: 1-line block ×3, first 2 shown]
	v_mul_lo_u32 v11, s31, v11
	v_cvt_f16_f32_e32 v19, v18
	v_lshlrev_b64 v[0:1], 1, v[0:1]
	v_lshlrev_b64 v[13:14], 1, v[13:14]
	v_ashrrev_i32_e32 v18, 31, v17
	v_ashrrev_i32_e32 v12, 31, v11
	s_delay_alu instid0(VALU_DEP_4) | instskip(SKIP_2) | instid1(VALU_DEP_3)
	v_add_co_u32 v20, vcc_lo, s40, v0
	v_add_co_ci_u32_e32 v21, vcc_lo, s41, v1, vcc_lo
	v_lshlrev_b64 v[0:1], 1, v[15:16]
	v_add_co_u32 v15, vcc_lo, v20, v13
	s_delay_alu instid0(VALU_DEP_3) | instskip(SKIP_1) | instid1(VALU_DEP_3)
	v_add_co_ci_u32_e32 v16, vcc_lo, v21, v14, vcc_lo
	v_lshlrev_b64 v[13:14], 1, v[17:18]
	v_add_co_u32 v15, vcc_lo, v15, v0
	s_delay_alu instid0(VALU_DEP_3) | instskip(SKIP_1) | instid1(VALU_DEP_3)
	;; [unrolled: 4-line block ×3, first 2 shown]
	v_add_co_ci_u32_e32 v12, vcc_lo, v16, v14, vcc_lo
	v_cmp_le_i64_e32 vcc_lo, s[34:35], v[2:3]
	v_add_co_u32 v0, s0, v11, v0
	s_delay_alu instid0(VALU_DEP_1)
	v_add_co_ci_u32_e64 v1, s0, v12, v1, s0
	s_or_b32 s44, vcc_lo, s44
	global_store_b16 v[0:1], v19, off
	s_and_not1_b32 exec_lo, exec_lo, s44
	s_cbranch_execz .LBB26_18
.LBB26_4:                               ; =>This Loop Header: Depth=1
                                        ;     Child Loop BB26_7 Depth 2
                                        ;       Child Loop BB26_10 Depth 3
                                        ;         Child Loop BB26_13 Depth 4
                                        ;           Child Loop BB26_16 Depth 5
	v_sub_nc_u32_e32 v0, 0, v2
	s_mov_b32 s62, exec_lo
	s_delay_alu instid0(VALU_DEP_1) | instskip(NEXT) | instid1(VALU_DEP_1)
	v_max_i32_e32 v0, v2, v0
	v_mul_hi_u32 v1, v0, v4
	s_delay_alu instid0(VALU_DEP_1) | instskip(NEXT) | instid1(VALU_DEP_1)
	v_mul_lo_u32 v11, v1, s49
	v_sub_nc_u32_e32 v0, v0, v11
	s_delay_alu instid0(VALU_DEP_1) | instskip(SKIP_1) | instid1(VALU_DEP_2)
	v_subrev_nc_u32_e32 v12, s49, v0
	v_cmp_le_u32_e32 vcc_lo, s49, v0
	v_dual_cndmask_b32 v0, v0, v12 :: v_dual_add_nc_u32 v11, 1, v1
	s_delay_alu instid0(VALU_DEP_1) | instskip(SKIP_1) | instid1(VALU_DEP_3)
	v_cndmask_b32_e32 v1, v1, v11, vcc_lo
	v_ashrrev_i32_e32 v11, 31, v2
	v_cmp_le_u32_e32 vcc_lo, s49, v0
	s_delay_alu instid0(VALU_DEP_3) | instskip(NEXT) | instid1(VALU_DEP_3)
	v_add_nc_u32_e32 v12, 1, v1
	v_xor_b32_e32 v11, s56, v11
	s_delay_alu instid0(VALU_DEP_2) | instskip(NEXT) | instid1(VALU_DEP_1)
	v_cndmask_b32_e32 v0, v1, v12, vcc_lo
	v_xor_b32_e32 v0, v0, v11
	s_delay_alu instid0(VALU_DEP_1) | instskip(NEXT) | instid1(VALU_DEP_1)
	v_sub_nc_u32_e32 v0, v0, v11
	v_sub_nc_u32_e32 v1, 0, v0
	s_delay_alu instid0(VALU_DEP_1) | instskip(NEXT) | instid1(VALU_DEP_1)
	v_max_i32_e32 v1, v0, v1
	v_mul_hi_u32 v11, v1, v5
	s_delay_alu instid0(VALU_DEP_1) | instskip(NEXT) | instid1(VALU_DEP_1)
	v_mul_lo_u32 v12, v11, s50
	v_sub_nc_u32_e32 v1, v1, v12
	s_delay_alu instid0(VALU_DEP_1) | instskip(SKIP_1) | instid1(VALU_DEP_2)
	v_subrev_nc_u32_e32 v13, s50, v1
	v_cmp_le_u32_e32 vcc_lo, s50, v1
	v_dual_cndmask_b32 v1, v1, v13 :: v_dual_add_nc_u32 v12, 1, v11
	s_delay_alu instid0(VALU_DEP_1) | instskip(SKIP_1) | instid1(VALU_DEP_3)
	v_cndmask_b32_e32 v11, v11, v12, vcc_lo
	v_ashrrev_i32_e32 v12, 31, v0
	v_cmp_le_u32_e32 vcc_lo, s50, v1
	s_delay_alu instid0(VALU_DEP_3) | instskip(NEXT) | instid1(VALU_DEP_3)
	v_add_nc_u32_e32 v13, 1, v11
	v_xor_b32_e32 v12, s57, v12
	s_delay_alu instid0(VALU_DEP_2) | instskip(NEXT) | instid1(VALU_DEP_1)
	v_cndmask_b32_e32 v1, v11, v13, vcc_lo
	v_xor_b32_e32 v1, v1, v12
	s_delay_alu instid0(VALU_DEP_1) | instskip(NEXT) | instid1(VALU_DEP_1)
	v_sub_nc_u32_e32 v1, v1, v12
	v_sub_nc_u32_e32 v11, 0, v1
	s_delay_alu instid0(VALU_DEP_1) | instskip(NEXT) | instid1(VALU_DEP_1)
	v_max_i32_e32 v11, v1, v11
	v_mul_hi_u32 v12, v11, v6
	s_delay_alu instid0(VALU_DEP_1) | instskip(NEXT) | instid1(VALU_DEP_1)
	v_mul_lo_u32 v13, v12, s51
	v_sub_nc_u32_e32 v11, v11, v13
	v_add_nc_u32_e32 v13, 1, v12
	s_delay_alu instid0(VALU_DEP_2) | instskip(SKIP_1) | instid1(VALU_DEP_2)
	v_subrev_nc_u32_e32 v14, s51, v11
	v_cmp_le_u32_e32 vcc_lo, s51, v11
	v_dual_cndmask_b32 v12, v12, v13 :: v_dual_cndmask_b32 v11, v11, v14
	v_ashrrev_i32_e32 v13, 31, v1
	s_delay_alu instid0(VALU_DEP_2) | instskip(NEXT) | instid1(VALU_DEP_3)
	v_add_nc_u32_e32 v14, 1, v12
	v_cmp_le_u32_e32 vcc_lo, s51, v11
	s_delay_alu instid0(VALU_DEP_3) | instskip(NEXT) | instid1(VALU_DEP_3)
	v_xor_b32_e32 v13, s58, v13
	v_cndmask_b32_e32 v11, v12, v14, vcc_lo
	s_delay_alu instid0(VALU_DEP_1) | instskip(NEXT) | instid1(VALU_DEP_1)
	v_xor_b32_e32 v11, v11, v13
	v_sub_nc_u32_e32 v11, v11, v13
	s_delay_alu instid0(VALU_DEP_1) | instskip(SKIP_1) | instid1(VALU_DEP_2)
	v_sub_nc_u32_e32 v12, 0, v11
	v_mul_lo_u32 v18, v11, s18
	v_max_i32_e32 v12, v11, v12
	s_delay_alu instid0(VALU_DEP_1) | instskip(NEXT) | instid1(VALU_DEP_1)
	v_mul_hi_u32 v13, v12, v7
	v_mul_lo_u32 v14, v13, s33
	s_delay_alu instid0(VALU_DEP_1) | instskip(SKIP_1) | instid1(VALU_DEP_2)
	v_sub_nc_u32_e32 v12, v12, v14
	v_add_nc_u32_e32 v14, 1, v13
	v_subrev_nc_u32_e32 v15, s33, v12
	v_cmp_le_u32_e32 vcc_lo, s33, v12
	s_delay_alu instid0(VALU_DEP_2) | instskip(SKIP_1) | instid1(VALU_DEP_2)
	v_dual_cndmask_b32 v13, v13, v14 :: v_dual_cndmask_b32 v12, v12, v15
	v_ashrrev_i32_e32 v14, 31, v11
	v_add_nc_u32_e32 v15, 1, v13
	s_delay_alu instid0(VALU_DEP_3) | instskip(NEXT) | instid1(VALU_DEP_3)
	v_cmp_le_u32_e32 vcc_lo, s33, v12
	v_xor_b32_e32 v14, s16, v14
	s_delay_alu instid0(VALU_DEP_3) | instskip(NEXT) | instid1(VALU_DEP_1)
	v_cndmask_b32_e32 v12, v13, v15, vcc_lo
	v_xor_b32_e32 v12, v12, v14
	s_delay_alu instid0(VALU_DEP_1) | instskip(SKIP_1) | instid1(VALU_DEP_2)
	v_sub_nc_u32_e32 v15, v12, v14
	v_mul_lo_u32 v14, v1, s19
	v_mul_lo_u32 v12, v15, s17
	s_delay_alu instid0(VALU_DEP_1) | instskip(SKIP_1) | instid1(VALU_DEP_2)
	v_sub_nc_u32_e32 v13, v11, v12
	v_mul_lo_u32 v12, v0, s6
	v_mul_lo_u32 v16, v13, s45
	s_delay_alu instid0(VALU_DEP_2) | instskip(SKIP_2) | instid1(VALU_DEP_4)
	v_sub_nc_u32_e32 v11, v2, v12
	v_sub_nc_u32_e32 v12, v0, v14
	;; [unrolled: 1-line block ×3, first 2 shown]
	v_dual_mov_b32 v18, 0 :: v_dual_add_nc_u32 v17, s45, v16
	s_delay_alu instid0(VALU_DEP_1)
	v_cmpx_lt_i32_e64 v16, v17
	s_cbranch_execz .LBB26_3
; %bb.5:                                ;   in Loop: Header=BB26_4 Depth=1
	s_waitcnt lgkmcnt(0)
	v_mul_lo_u32 v0, s27, v16
	v_mul_lo_u32 v22, s38, v15
	v_dual_mov_b32 v18, 0 :: v_dual_add_nc_u32 v19, s13, v11
	v_add_nc_u32_e32 v20, s12, v12
	v_add_nc_u32_e32 v21, s11, v14
	s_mov_b32 s63, 0
	v_ashrrev_i32_e32 v1, 31, v0
	v_ashrrev_i32_e32 v23, 31, v22
	s_delay_alu instid0(VALU_DEP_2) | instskip(NEXT) | instid1(VALU_DEP_2)
	v_lshlrev_b64 v[0:1], 1, v[0:1]
	v_lshlrev_b64 v[22:23], 1, v[22:23]
	s_delay_alu instid0(VALU_DEP_2) | instskip(NEXT) | instid1(VALU_DEP_3)
	v_add_co_u32 v0, vcc_lo, s42, v0
	v_add_co_ci_u32_e32 v1, vcc_lo, s43, v1, vcc_lo
	s_delay_alu instid0(VALU_DEP_3) | instskip(NEXT) | instid1(VALU_DEP_4)
	v_add_co_u32 v22, vcc_lo, s36, v22
	v_add_co_ci_u32_e32 v23, vcc_lo, s37, v23, vcc_lo
	s_branch .LBB26_7
.LBB26_6:                               ;   in Loop: Header=BB26_7 Depth=2
	v_add_nc_u32_e32 v16, 1, v16
	s_delay_alu instid0(VALU_DEP_1) | instskip(SKIP_1) | instid1(SALU_CYCLE_1)
	v_cmp_eq_u32_e32 vcc_lo, v16, v17
	s_or_b32 s63, vcc_lo, s63
	s_and_not1_b32 exec_lo, exec_lo, s63
	s_cbranch_execz .LBB26_2
.LBB26_7:                               ;   Parent Loop BB26_4 Depth=1
                                        ; =>  This Loop Header: Depth=2
                                        ;       Child Loop BB26_10 Depth 3
                                        ;         Child Loop BB26_13 Depth 4
                                        ;           Child Loop BB26_16 Depth 5
	s_and_not1_b32 vcc_lo, exec_lo, s46
	s_cbranch_vccnz .LBB26_6
; %bb.8:                                ;   in Loop: Header=BB26_7 Depth=2
	v_mul_lo_u32 v24, s39, v16
	s_mov_b32 s64, 0
	s_delay_alu instid0(VALU_DEP_1) | instskip(NEXT) | instid1(VALU_DEP_1)
	v_ashrrev_i32_e32 v25, 31, v24
	v_lshlrev_b64 v[24:25], 1, v[24:25]
	s_delay_alu instid0(VALU_DEP_1) | instskip(NEXT) | instid1(VALU_DEP_2)
	v_add_co_u32 v24, vcc_lo, v22, v24
	v_add_co_ci_u32_e32 v25, vcc_lo, v23, v25, vcc_lo
	s_branch .LBB26_10
.LBB26_9:                               ;   in Loop: Header=BB26_10 Depth=3
	s_add_i32 s64, s64, 1
	s_delay_alu instid0(SALU_CYCLE_1)
	s_cmp_eq_u32 s64, s24
	s_cbranch_scc1 .LBB26_6
.LBB26_10:                              ;   Parent Loop BB26_4 Depth=1
                                        ;     Parent Loop BB26_7 Depth=2
                                        ; =>    This Loop Header: Depth=3
                                        ;         Child Loop BB26_13 Depth 4
                                        ;           Child Loop BB26_16 Depth 5
	s_and_not1_b32 vcc_lo, exec_lo, s47
	s_cbranch_vccnz .LBB26_9
; %bb.11:                               ;   in Loop: Header=BB26_10 Depth=3
	s_mul_i32 s0, s64, s14
	s_mov_b32 s65, 0
	v_subrev_nc_u32_e32 v27, s0, v21
	s_delay_alu instid0(VALU_DEP_1) | instskip(NEXT) | instid1(VALU_DEP_1)
	v_sub_nc_u32_e32 v26, 0, v27
	v_max_i32_e32 v26, v27, v26
	s_delay_alu instid0(VALU_DEP_1) | instskip(NEXT) | instid1(VALU_DEP_1)
	v_mul_hi_u32 v28, v26, v8
	v_mul_lo_u32 v29, v28, s52
	s_delay_alu instid0(VALU_DEP_1) | instskip(NEXT) | instid1(VALU_DEP_1)
	v_sub_nc_u32_e32 v26, v26, v29
	v_subrev_nc_u32_e32 v30, s52, v26
	v_cmp_le_u32_e32 vcc_lo, s52, v26
	s_delay_alu instid0(VALU_DEP_2) | instskip(NEXT) | instid1(VALU_DEP_1)
	v_dual_cndmask_b32 v26, v26, v30 :: v_dual_add_nc_u32 v29, 1, v28
	v_cndmask_b32_e32 v28, v28, v29, vcc_lo
	v_ashrrev_i32_e32 v29, 31, v27
	s_delay_alu instid0(VALU_DEP_3) | instskip(NEXT) | instid1(VALU_DEP_3)
	v_cmp_le_u32_e32 vcc_lo, s52, v26
	v_add_nc_u32_e32 v30, 1, v28
	s_delay_alu instid0(VALU_DEP_3) | instskip(NEXT) | instid1(VALU_DEP_2)
	v_xor_b32_e32 v29, s59, v29
	v_cndmask_b32_e32 v26, v28, v30, vcc_lo
	s_delay_alu instid0(VALU_DEP_1) | instskip(NEXT) | instid1(VALU_DEP_1)
	v_xor_b32_e32 v26, v26, v29
	v_sub_nc_u32_e32 v28, v26, v29
	s_delay_alu instid0(VALU_DEP_1) | instskip(SKIP_3) | instid1(VALU_DEP_4)
	v_mul_lo_u32 v29, v28, s8
	v_mul_lo_u32 v26, v28, s22
	v_cmp_lt_i32_e64 s0, -1, v28
	v_cmp_gt_i32_e64 s1, s21, v28
	v_cmp_eq_u32_e64 s2, v29, v27
	s_branch .LBB26_13
.LBB26_12:                              ;   in Loop: Header=BB26_13 Depth=4
	s_add_i32 s65, s65, 1
	s_delay_alu instid0(SALU_CYCLE_1)
	s_cmp_eq_u32 s65, s25
	s_cbranch_scc1 .LBB26_9
.LBB26_13:                              ;   Parent Loop BB26_4 Depth=1
                                        ;     Parent Loop BB26_7 Depth=2
                                        ;       Parent Loop BB26_10 Depth=3
                                        ; =>      This Loop Header: Depth=4
                                        ;           Child Loop BB26_16 Depth 5
	s_and_not1_b32 vcc_lo, exec_lo, s48
	s_cbranch_vccnz .LBB26_12
; %bb.14:                               ;   in Loop: Header=BB26_13 Depth=4
	s_mul_i32 s3, s65, s15
	s_mov_b32 s67, s26
	v_subrev_nc_u32_e32 v28, s3, v20
	s_delay_alu instid0(VALU_DEP_1) | instskip(NEXT) | instid1(VALU_DEP_1)
	v_sub_nc_u32_e32 v27, 0, v28
	v_max_i32_e32 v27, v28, v27
	s_delay_alu instid0(VALU_DEP_1) | instskip(NEXT) | instid1(VALU_DEP_1)
	v_mul_hi_u32 v29, v27, v9
	v_mul_lo_u32 v30, v29, s53
	s_delay_alu instid0(VALU_DEP_1) | instskip(NEXT) | instid1(VALU_DEP_1)
	v_sub_nc_u32_e32 v27, v27, v30
	v_subrev_nc_u32_e32 v31, s53, v27
	v_cmp_le_u32_e32 vcc_lo, s53, v27
	s_delay_alu instid0(VALU_DEP_2) | instskip(NEXT) | instid1(VALU_DEP_1)
	v_dual_cndmask_b32 v27, v27, v31 :: v_dual_add_nc_u32 v30, 1, v29
	v_cndmask_b32_e32 v29, v29, v30, vcc_lo
	v_ashrrev_i32_e32 v30, 31, v28
	s_delay_alu instid0(VALU_DEP_3) | instskip(NEXT) | instid1(VALU_DEP_3)
	v_cmp_le_u32_e32 vcc_lo, s53, v27
	v_add_nc_u32_e32 v31, 1, v29
	s_delay_alu instid0(VALU_DEP_3) | instskip(NEXT) | instid1(VALU_DEP_2)
	v_xor_b32_e32 v30, s60, v30
	v_cndmask_b32_e32 v27, v29, v31, vcc_lo
	s_delay_alu instid0(VALU_DEP_1) | instskip(NEXT) | instid1(VALU_DEP_1)
	v_xor_b32_e32 v27, v27, v30
	v_sub_nc_u32_e32 v29, v27, v30
	s_delay_alu instid0(VALU_DEP_1) | instskip(SKIP_3) | instid1(VALU_DEP_3)
	v_mul_lo_u32 v30, v29, s9
	v_add_nc_u32_e32 v27, v29, v26
	v_cmp_lt_i32_e32 vcc_lo, -1, v29
	v_cmp_gt_i32_e64 s3, s22, v29
	v_mul_lo_u32 v27, v27, s23
	v_cmp_eq_u32_e64 s4, v30, v28
	v_mov_b32_e32 v28, v19
	s_delay_alu instid0(VALU_DEP_2)
	s_and_b32 s66, s2, s4
	s_branch .LBB26_16
.LBB26_15:                              ;   in Loop: Header=BB26_16 Depth=5
	s_or_b32 exec_lo, exec_lo, s5
	v_mul_lo_u32 v30, v30, s10
	s_waitcnt vmcnt(0)
	v_fma_mix_f32 v29, v31, v29, v18 op_sel_hi:[0,1,0]
	v_add_co_u32 v0, s5, v0, 2
	s_delay_alu instid0(VALU_DEP_1) | instskip(SKIP_1) | instid1(VALU_DEP_4)
	v_add_co_ci_u32_e64 v1, s5, 0, v1, s5
	s_add_i32 s67, s67, -1
	v_cmp_eq_u32_e64 s4, v28, v30
	v_subrev_nc_u32_e32 v28, s20, v28
	s_delay_alu instid0(VALU_DEP_2)
	s_and_b32 s4, s66, s4
	s_cmp_eq_u32 s67, 0
	v_cndmask_b32_e64 v18, v18, v29, s4
	s_cbranch_scc1 .LBB26_12
.LBB26_16:                              ;   Parent Loop BB26_4 Depth=1
                                        ;     Parent Loop BB26_7 Depth=2
                                        ;       Parent Loop BB26_10 Depth=3
                                        ;         Parent Loop BB26_13 Depth=4
                                        ; =>        This Inner Loop Header: Depth=5
	global_load_u16 v29, v[0:1], off
	v_sub_nc_u32_e32 v30, 0, v28
	s_delay_alu instid0(VALU_DEP_1) | instskip(NEXT) | instid1(VALU_DEP_1)
	v_max_i32_e32 v30, v28, v30
	v_mul_hi_u32 v31, v30, v10
	s_delay_alu instid0(VALU_DEP_1) | instskip(NEXT) | instid1(VALU_DEP_1)
	v_mul_lo_u32 v32, v31, s54
	v_sub_nc_u32_e32 v30, v30, v32
	v_add_nc_u32_e32 v32, 1, v31
	s_delay_alu instid0(VALU_DEP_2) | instskip(SKIP_1) | instid1(VALU_DEP_1)
	v_subrev_nc_u32_e32 v33, s54, v30
	v_cmp_le_u32_e64 s4, s54, v30
	v_cndmask_b32_e64 v31, v31, v32, s4
	s_delay_alu instid0(VALU_DEP_3) | instskip(SKIP_1) | instid1(VALU_DEP_3)
	v_cndmask_b32_e64 v30, v30, v33, s4
	v_ashrrev_i32_e32 v32, 31, v28
	v_add_nc_u32_e32 v33, 1, v31
	s_delay_alu instid0(VALU_DEP_3) | instskip(NEXT) | instid1(VALU_DEP_3)
	v_cmp_le_u32_e64 s4, s54, v30
	v_xor_b32_e32 v32, s61, v32
	s_delay_alu instid0(VALU_DEP_2) | instskip(SKIP_1) | instid1(VALU_DEP_2)
	v_cndmask_b32_e64 v30, v31, v33, s4
	v_mov_b32_e32 v31, 0
	v_xor_b32_e32 v30, v30, v32
	s_delay_alu instid0(VALU_DEP_1) | instskip(NEXT) | instid1(VALU_DEP_1)
	v_sub_nc_u32_e32 v30, v30, v32
	v_cmp_lt_i32_e64 s4, -1, v30
	v_cmp_gt_i32_e64 s5, s23, v30
	s_delay_alu instid0(VALU_DEP_2) | instskip(NEXT) | instid1(SALU_CYCLE_1)
	s_and_b32 s4, s4, vcc_lo
	s_and_b32 s4, s4, s0
	s_delay_alu instid0(VALU_DEP_1) | instid1(SALU_CYCLE_1)
	s_and_b32 s4, s5, s4
	s_delay_alu instid0(SALU_CYCLE_1) | instskip(NEXT) | instid1(SALU_CYCLE_1)
	s_and_b32 s4, s4, s3
	s_and_b32 s4, s4, s1
	s_delay_alu instid0(SALU_CYCLE_1)
	s_and_saveexec_b32 s5, s4
	s_cbranch_execz .LBB26_15
; %bb.17:                               ;   in Loop: Header=BB26_16 Depth=5
	v_add_nc_u32_e32 v31, v30, v27
	s_delay_alu instid0(VALU_DEP_1) | instskip(NEXT) | instid1(VALU_DEP_1)
	v_ashrrev_i32_e32 v32, 31, v31
	v_lshlrev_b64 v[31:32], 1, v[31:32]
	s_delay_alu instid0(VALU_DEP_1) | instskip(NEXT) | instid1(VALU_DEP_1)
	v_add_co_u32 v31, s4, v24, v31
	v_add_co_ci_u32_e64 v32, s4, v25, v32, s4
	global_load_u16 v31, v[31:32], off
	s_waitcnt vmcnt(0)
	v_cvt_f32_f16_e32 v31, v31
	s_branch .LBB26_15
.LBB26_18:
	s_nop 0
	s_sendmsg sendmsg(MSG_DEALLOC_VGPRS)
	s_endpgm
	.section	.rodata,"a",@progbits
	.p2align	6, 0x0
	.amdhsa_kernel _ZN2at6native12_GLOBAL__N_143conv_depthwise3d_cuda_backward_input_kernelIN3c104HalfEfLin1ELin1ELin1ELin1ELin1ELin1ELin1ELin1ELin1EEEvN5torch10headeronly6detail27GenericPackedTensorAccessorINS7_14TensorAccessorINS3_8ArrayRefIlEEKT_Lm4ENS6_16DefaultPtrTraitsEiEENS_6detail16IndexBoundsCheckILm5EiEESD_Lm5ESE_iEENS8_INS9_ISB_SC_Lm4ESE_iEESI_SC_Lm5ESE_iEESJ_iiiiiiiii
		.amdhsa_group_segment_fixed_size 0
		.amdhsa_private_segment_fixed_size 0
		.amdhsa_kernarg_size 440
		.amdhsa_user_sgpr_count 15
		.amdhsa_user_sgpr_dispatch_ptr 0
		.amdhsa_user_sgpr_queue_ptr 0
		.amdhsa_user_sgpr_kernarg_segment_ptr 1
		.amdhsa_user_sgpr_dispatch_id 0
		.amdhsa_user_sgpr_private_segment_size 0
		.amdhsa_wavefront_size32 1
		.amdhsa_uses_dynamic_stack 0
		.amdhsa_enable_private_segment 0
		.amdhsa_system_sgpr_workgroup_id_x 1
		.amdhsa_system_sgpr_workgroup_id_y 0
		.amdhsa_system_sgpr_workgroup_id_z 0
		.amdhsa_system_sgpr_workgroup_info 0
		.amdhsa_system_vgpr_workitem_id 0
		.amdhsa_next_free_vgpr 34
		.amdhsa_next_free_sgpr 68
		.amdhsa_reserve_vcc 1
		.amdhsa_float_round_mode_32 0
		.amdhsa_float_round_mode_16_64 0
		.amdhsa_float_denorm_mode_32 3
		.amdhsa_float_denorm_mode_16_64 3
		.amdhsa_dx10_clamp 1
		.amdhsa_ieee_mode 1
		.amdhsa_fp16_overflow 0
		.amdhsa_workgroup_processor_mode 1
		.amdhsa_memory_ordered 1
		.amdhsa_forward_progress 0
		.amdhsa_shared_vgpr_count 0
		.amdhsa_exception_fp_ieee_invalid_op 0
		.amdhsa_exception_fp_denorm_src 0
		.amdhsa_exception_fp_ieee_div_zero 0
		.amdhsa_exception_fp_ieee_overflow 0
		.amdhsa_exception_fp_ieee_underflow 0
		.amdhsa_exception_fp_ieee_inexact 0
		.amdhsa_exception_int_div_zero 0
	.end_amdhsa_kernel
	.section	.text._ZN2at6native12_GLOBAL__N_143conv_depthwise3d_cuda_backward_input_kernelIN3c104HalfEfLin1ELin1ELin1ELin1ELin1ELin1ELin1ELin1ELin1EEEvN5torch10headeronly6detail27GenericPackedTensorAccessorINS7_14TensorAccessorINS3_8ArrayRefIlEEKT_Lm4ENS6_16DefaultPtrTraitsEiEENS_6detail16IndexBoundsCheckILm5EiEESD_Lm5ESE_iEENS8_INS9_ISB_SC_Lm4ESE_iEESI_SC_Lm5ESE_iEESJ_iiiiiiiii,"axG",@progbits,_ZN2at6native12_GLOBAL__N_143conv_depthwise3d_cuda_backward_input_kernelIN3c104HalfEfLin1ELin1ELin1ELin1ELin1ELin1ELin1ELin1ELin1EEEvN5torch10headeronly6detail27GenericPackedTensorAccessorINS7_14TensorAccessorINS3_8ArrayRefIlEEKT_Lm4ENS6_16DefaultPtrTraitsEiEENS_6detail16IndexBoundsCheckILm5EiEESD_Lm5ESE_iEENS8_INS9_ISB_SC_Lm4ESE_iEESI_SC_Lm5ESE_iEESJ_iiiiiiiii,comdat
.Lfunc_end26:
	.size	_ZN2at6native12_GLOBAL__N_143conv_depthwise3d_cuda_backward_input_kernelIN3c104HalfEfLin1ELin1ELin1ELin1ELin1ELin1ELin1ELin1ELin1EEEvN5torch10headeronly6detail27GenericPackedTensorAccessorINS7_14TensorAccessorINS3_8ArrayRefIlEEKT_Lm4ENS6_16DefaultPtrTraitsEiEENS_6detail16IndexBoundsCheckILm5EiEESD_Lm5ESE_iEENS8_INS9_ISB_SC_Lm4ESE_iEESI_SC_Lm5ESE_iEESJ_iiiiiiiii, .Lfunc_end26-_ZN2at6native12_GLOBAL__N_143conv_depthwise3d_cuda_backward_input_kernelIN3c104HalfEfLin1ELin1ELin1ELin1ELin1ELin1ELin1ELin1ELin1EEEvN5torch10headeronly6detail27GenericPackedTensorAccessorINS7_14TensorAccessorINS3_8ArrayRefIlEEKT_Lm4ENS6_16DefaultPtrTraitsEiEENS_6detail16IndexBoundsCheckILm5EiEESD_Lm5ESE_iEENS8_INS9_ISB_SC_Lm4ESE_iEESI_SC_Lm5ESE_iEESJ_iiiiiiiii
                                        ; -- End function
	.section	.AMDGPU.csdata,"",@progbits
; Kernel info:
; codeLenInByte = 2360
; NumSgprs: 70
; NumVgprs: 34
; ScratchSize: 0
; MemoryBound: 0
; FloatMode: 240
; IeeeMode: 1
; LDSByteSize: 0 bytes/workgroup (compile time only)
; SGPRBlocks: 8
; VGPRBlocks: 4
; NumSGPRsForWavesPerEU: 70
; NumVGPRsForWavesPerEU: 34
; Occupancy: 16
; WaveLimiterHint : 0
; COMPUTE_PGM_RSRC2:SCRATCH_EN: 0
; COMPUTE_PGM_RSRC2:USER_SGPR: 15
; COMPUTE_PGM_RSRC2:TRAP_HANDLER: 0
; COMPUTE_PGM_RSRC2:TGID_X_EN: 1
; COMPUTE_PGM_RSRC2:TGID_Y_EN: 0
; COMPUTE_PGM_RSRC2:TGID_Z_EN: 0
; COMPUTE_PGM_RSRC2:TIDIG_COMP_CNT: 0
	.section	.text._ZN2at6native12_GLOBAL__N_143conv_depthwise3d_cuda_backward_input_kernelIN3c108BFloat16EfLi3ELi3ELi3ELi1ELi1ELi1ELi1ELi1ELi1EEEvN5torch10headeronly6detail27GenericPackedTensorAccessorINS7_14TensorAccessorINS3_8ArrayRefIlEEKT_Lm4ENS6_16DefaultPtrTraitsEiEENS_6detail16IndexBoundsCheckILm5EiEESD_Lm5ESE_iEENS8_INS9_ISB_SC_Lm4ESE_iEESI_SC_Lm5ESE_iEESJ_iiiiiiiii,"axG",@progbits,_ZN2at6native12_GLOBAL__N_143conv_depthwise3d_cuda_backward_input_kernelIN3c108BFloat16EfLi3ELi3ELi3ELi1ELi1ELi1ELi1ELi1ELi1EEEvN5torch10headeronly6detail27GenericPackedTensorAccessorINS7_14TensorAccessorINS3_8ArrayRefIlEEKT_Lm4ENS6_16DefaultPtrTraitsEiEENS_6detail16IndexBoundsCheckILm5EiEESD_Lm5ESE_iEENS8_INS9_ISB_SC_Lm4ESE_iEESI_SC_Lm5ESE_iEESJ_iiiiiiiii,comdat
	.globl	_ZN2at6native12_GLOBAL__N_143conv_depthwise3d_cuda_backward_input_kernelIN3c108BFloat16EfLi3ELi3ELi3ELi1ELi1ELi1ELi1ELi1ELi1EEEvN5torch10headeronly6detail27GenericPackedTensorAccessorINS7_14TensorAccessorINS3_8ArrayRefIlEEKT_Lm4ENS6_16DefaultPtrTraitsEiEENS_6detail16IndexBoundsCheckILm5EiEESD_Lm5ESE_iEENS8_INS9_ISB_SC_Lm4ESE_iEESI_SC_Lm5ESE_iEESJ_iiiiiiiii ; -- Begin function _ZN2at6native12_GLOBAL__N_143conv_depthwise3d_cuda_backward_input_kernelIN3c108BFloat16EfLi3ELi3ELi3ELi1ELi1ELi1ELi1ELi1ELi1EEEvN5torch10headeronly6detail27GenericPackedTensorAccessorINS7_14TensorAccessorINS3_8ArrayRefIlEEKT_Lm4ENS6_16DefaultPtrTraitsEiEENS_6detail16IndexBoundsCheckILm5EiEESD_Lm5ESE_iEENS8_INS9_ISB_SC_Lm4ESE_iEESI_SC_Lm5ESE_iEESJ_iiiiiiiii
	.p2align	8
	.type	_ZN2at6native12_GLOBAL__N_143conv_depthwise3d_cuda_backward_input_kernelIN3c108BFloat16EfLi3ELi3ELi3ELi1ELi1ELi1ELi1ELi1ELi1EEEvN5torch10headeronly6detail27GenericPackedTensorAccessorINS7_14TensorAccessorINS3_8ArrayRefIlEEKT_Lm4ENS6_16DefaultPtrTraitsEiEENS_6detail16IndexBoundsCheckILm5EiEESD_Lm5ESE_iEENS8_INS9_ISB_SC_Lm4ESE_iEESI_SC_Lm5ESE_iEESJ_iiiiiiiii,@function
_ZN2at6native12_GLOBAL__N_143conv_depthwise3d_cuda_backward_input_kernelIN3c108BFloat16EfLi3ELi3ELi3ELi1ELi1ELi1ELi1ELi1ELi1EEEvN5torch10headeronly6detail27GenericPackedTensorAccessorINS7_14TensorAccessorINS3_8ArrayRefIlEEKT_Lm4ENS6_16DefaultPtrTraitsEiEENS_6detail16IndexBoundsCheckILm5EiEESD_Lm5ESE_iEENS8_INS9_ISB_SC_Lm4ESE_iEESI_SC_Lm5ESE_iEESJ_iiiiiiiii: ; @_ZN2at6native12_GLOBAL__N_143conv_depthwise3d_cuda_backward_input_kernelIN3c108BFloat16EfLi3ELi3ELi3ELi1ELi1ELi1ELi1ELi1ELi1EEEvN5torch10headeronly6detail27GenericPackedTensorAccessorINS7_14TensorAccessorINS3_8ArrayRefIlEEKT_Lm4ENS6_16DefaultPtrTraitsEiEENS_6detail16IndexBoundsCheckILm5EiEESD_Lm5ESE_iEENS8_INS9_ISB_SC_Lm4ESE_iEESI_SC_Lm5ESE_iEESJ_iiiiiiiii
; %bb.0:
	s_clause 0x2
	s_load_b128 s[8:11], s[0:1], 0x38
	s_load_b32 s4, s[0:1], 0xc4
	s_load_b64 s[24:25], s[0:1], 0x48
	s_mov_b32 s6, exec_lo
	s_waitcnt lgkmcnt(0)
	s_abs_i32 s7, s9
	s_add_u32 s2, s0, 0xb8
	v_cvt_f32_u32_e32 v1, s7
	s_addc_u32 s3, s1, 0
	s_and_b32 s4, s4, 0xffff
	s_mul_i32 s26, s25, s8
	s_delay_alu instid0(SALU_CYCLE_1) | instskip(SKIP_3) | instid1(VALU_DEP_1)
	s_ashr_i32 s27, s26, 31
	v_rcp_iflag_f32_e32 v2, v1
	s_waitcnt_depctr 0xfff
	v_dual_mov_b32 v1, 0 :: v_dual_mul_f32 v4, 0x4f7ffffe, v2
	v_mad_u64_u32 v[2:3], null, s4, s15, v[0:1]
	s_delay_alu instid0(VALU_DEP_2) | instskip(NEXT) | instid1(VALU_DEP_1)
	v_cvt_u32_f32_e32 v0, v4
	v_readfirstlane_b32 s5, v0
	s_delay_alu instid0(VALU_DEP_3)
	v_cmpx_gt_i64_e64 s[26:27], v[2:3]
	s_cbranch_execz .LBB27_60
; %bb.1:
	s_clause 0x1
	s_load_b128 s[12:15], s[0:1], 0xc
	s_load_b64 s[28:29], s[0:1], 0x0
	s_sub_i32 s6, 0, s7
	s_mov_b32 s39, 0
	s_mul_i32 s8, s6, s5
	v_mul_lo_u32 v6, s6, v0
	s_mul_hi_u32 s8, s5, s8
	s_delay_alu instid0(SALU_CYCLE_1) | instskip(SKIP_1) | instid1(VALU_DEP_1)
	s_add_i32 s5, s5, s8
	s_ashr_i32 s8, s9, 31
	v_mul_hi_u32 v6, v0, v6
	s_waitcnt lgkmcnt(0)
	s_abs_i32 s16, s12
	s_ashr_i32 s12, s12, 31
	s_mul_hi_u32 s5, s16, s5
	s_xor_b32 s42, s12, s8
	s_mul_i32 s17, s5, s7
	s_delay_alu instid0(VALU_DEP_1)
	v_add_nc_u32_e32 v63, v0, v6
	s_sub_i32 s12, s16, s17
	s_add_i32 s16, s5, 1
	s_sub_i32 s17, s12, s7
	s_cmp_ge_u32 s12, s7
	s_cselect_b32 s5, s16, s5
	s_cselect_b32 s12, s17, s12
	s_add_i32 s16, s5, 1
	s_cmp_ge_u32 s12, s7
	s_cselect_b32 s5, s16, s5
	s_abs_i32 s12, s24
	s_abs_i32 s33, s11
	v_cvt_f32_u32_e32 v1, s12
	v_cvt_f32_u32_e32 v4, s33
	s_abs_i32 s38, s10
	s_load_b32 s2, s[2:3], 0x0
	s_load_b128 s[16:19], s[0:1], 0x9c
	v_cvt_f32_u32_e32 v5, s38
	v_rcp_iflag_f32_e32 v1, v1
	v_rcp_iflag_f32_e32 v4, v4
	s_sub_i32 s3, 0, s12
	s_sub_i32 s6, 0, s33
	v_rcp_iflag_f32_e32 v5, v5
	s_sub_i32 s20, 0, s38
	s_waitcnt lgkmcnt(0)
	s_clause 0x2
	s_load_b32 s19, s[0:1], 0x7c
	s_load_b64 s[30:31], s[0:1], 0x1c
	s_load_b64 s[34:35], s[0:1], 0x30
	s_ashr_i32 s41, s24, 31
	s_ashr_i32 s43, s11, 31
	;; [unrolled: 1-line block ×3, first 2 shown]
	s_waitcnt_depctr 0xfff
	v_dual_mul_f32 v1, 0x4f7ffffe, v1 :: v_dual_mul_f32 v4, 0x4f7ffffe, v4
	s_delay_alu instid0(VALU_DEP_1) | instskip(NEXT) | instid1(VALU_DEP_2)
	v_cvt_u32_f32_e32 v1, v1
	v_cvt_u32_f32_e32 v4, v4
	s_mul_i32 s40, s2, s4
	s_delay_alu instid0(VALU_DEP_2) | instskip(NEXT) | instid1(VALU_DEP_2)
	v_mul_lo_u32 v7, s3, v1
	v_mul_lo_u32 v8, s6, v4
	s_delay_alu instid0(VALU_DEP_2) | instskip(SKIP_1) | instid1(VALU_DEP_3)
	v_mul_hi_u32 v7, v1, v7
	v_mul_f32_e32 v5, 0x4f7ffffe, v5
	v_mul_hi_u32 v8, v4, v8
	s_delay_alu instid0(VALU_DEP_3) | instskip(NEXT) | instid1(VALU_DEP_3)
	v_add_nc_u32_e32 v60, v1, v7
	v_cvt_u32_f32_e32 v5, v5
	s_delay_alu instid0(VALU_DEP_3) | instskip(NEXT) | instid1(VALU_DEP_2)
	v_add_nc_u32_e32 v61, v4, v8
	v_mul_lo_u32 v9, s20, v5
	s_clause 0x1
	s_load_b64 s[36:37], s[0:1], 0x60
	s_load_b128 s[20:23], s[0:1], 0x50
	s_xor_b32 s0, s5, s42
	s_delay_alu instid0(SALU_CYCLE_1) | instskip(SKIP_3) | instid1(VALU_DEP_1)
	s_sub_i32 s42, s0, s42
	s_waitcnt lgkmcnt(0)
	s_mul_i32 s45, s31, s42
	v_mul_hi_u32 v9, v5, v9
	v_add_nc_u32_e32 v62, v5, v9
	s_branch .LBB27_3
.LBB27_2:                               ;   in Loop: Header=BB27_3 Depth=1
	s_or_b32 exec_lo, exec_lo, s46
	v_mul_lo_u32 v0, v68, s25
	v_mul_lo_u32 v4, s20, v66
	v_bfe_u32 v5, v71, 16, 1
	v_mul_lo_u32 v6, s21, v67
	v_mul_lo_u32 v8, s22, v65
	;; [unrolled: 1-line block ×3, first 2 shown]
	s_delay_alu instid0(VALU_DEP_4) | instskip(SKIP_3) | instid1(VALU_DEP_4)
	v_add3_u32 v12, v71, v5, 0x7fff
	v_ashrrev_i32_e32 v1, 31, v0
	v_ashrrev_i32_e32 v5, 31, v4
	;; [unrolled: 1-line block ×3, first 2 shown]
	v_lshrrev_b32_e32 v12, 16, v12
	s_delay_alu instid0(VALU_DEP_4) | instskip(NEXT) | instid1(VALU_DEP_4)
	v_lshlrev_b64 v[0:1], 1, v[0:1]
	v_lshlrev_b64 v[4:5], 1, v[4:5]
	v_ashrrev_i32_e32 v9, 31, v8
	v_ashrrev_i32_e32 v11, 31, v10
	s_delay_alu instid0(VALU_DEP_4) | instskip(SKIP_2) | instid1(VALU_DEP_3)
	v_add_co_u32 v13, vcc_lo, s34, v0
	v_add_co_ci_u32_e32 v14, vcc_lo, s35, v1, vcc_lo
	v_lshlrev_b64 v[0:1], 1, v[6:7]
	v_add_co_u32 v4, vcc_lo, v13, v4
	s_delay_alu instid0(VALU_DEP_3) | instskip(SKIP_2) | instid1(VALU_DEP_4)
	v_add_co_ci_u32_e32 v5, vcc_lo, v14, v5, vcc_lo
	v_cmp_o_f32_e32 vcc_lo, v71, v71
	v_cndmask_b32_e32 v6, 0x7fc0, v12, vcc_lo
	v_add_co_u32 v7, vcc_lo, v4, v0
	s_delay_alu instid0(VALU_DEP_4) | instskip(SKIP_4) | instid1(VALU_DEP_4)
	v_add_co_ci_u32_e32 v12, vcc_lo, v5, v1, vcc_lo
	v_lshlrev_b64 v[0:1], 1, v[8:9]
	v_add_co_u32 v2, vcc_lo, v2, s40
	v_lshlrev_b64 v[4:5], 1, v[10:11]
	v_add_co_ci_u32_e32 v3, vcc_lo, 0, v3, vcc_lo
	v_add_co_u32 v0, vcc_lo, v7, v0
	v_add_co_ci_u32_e32 v1, vcc_lo, v12, v1, vcc_lo
	s_delay_alu instid0(VALU_DEP_3) | instskip(NEXT) | instid1(VALU_DEP_3)
	v_cmp_le_i64_e32 vcc_lo, s[26:27], v[2:3]
	v_add_co_u32 v0, s0, v0, v4
	s_delay_alu instid0(VALU_DEP_1)
	v_add_co_ci_u32_e64 v1, s0, v1, v5, s0
	s_or_b32 s39, vcc_lo, s39
	global_store_b16 v[0:1], v6, off
	s_and_not1_b32 exec_lo, exec_lo, s39
	s_cbranch_execz .LBB27_60
.LBB27_3:                               ; =>This Loop Header: Depth=1
                                        ;     Child Loop BB27_6 Depth 2
	v_sub_nc_u32_e32 v0, 0, v2
	s_mov_b32 s46, exec_lo
	v_mov_b32_e32 v71, 0
	s_delay_alu instid0(VALU_DEP_2) | instskip(NEXT) | instid1(VALU_DEP_1)
	v_max_i32_e32 v0, v2, v0
	v_mul_hi_u32 v1, v0, v60
	s_delay_alu instid0(VALU_DEP_1) | instskip(NEXT) | instid1(VALU_DEP_1)
	v_mul_lo_u32 v4, v1, s12
	v_sub_nc_u32_e32 v0, v0, v4
	v_add_nc_u32_e32 v4, 1, v1
	s_delay_alu instid0(VALU_DEP_2) | instskip(SKIP_1) | instid1(VALU_DEP_2)
	v_subrev_nc_u32_e32 v5, s12, v0
	v_cmp_le_u32_e32 vcc_lo, s12, v0
	v_dual_cndmask_b32 v1, v1, v4 :: v_dual_cndmask_b32 v0, v0, v5
	v_ashrrev_i32_e32 v4, 31, v2
	s_delay_alu instid0(VALU_DEP_2) | instskip(NEXT) | instid1(VALU_DEP_3)
	v_add_nc_u32_e32 v5, 1, v1
	v_cmp_le_u32_e32 vcc_lo, s12, v0
	s_delay_alu instid0(VALU_DEP_3) | instskip(NEXT) | instid1(VALU_DEP_3)
	v_xor_b32_e32 v4, s41, v4
	v_cndmask_b32_e32 v0, v1, v5, vcc_lo
	s_delay_alu instid0(VALU_DEP_1) | instskip(NEXT) | instid1(VALU_DEP_1)
	v_xor_b32_e32 v0, v0, v4
	v_sub_nc_u32_e32 v1, v0, v4
	s_delay_alu instid0(VALU_DEP_1) | instskip(NEXT) | instid1(VALU_DEP_1)
	v_sub_nc_u32_e32 v0, 0, v1
	v_max_i32_e32 v0, v1, v0
	s_delay_alu instid0(VALU_DEP_1) | instskip(NEXT) | instid1(VALU_DEP_1)
	v_mul_hi_u32 v4, v0, v61
	v_mul_lo_u32 v5, v4, s33
	s_delay_alu instid0(VALU_DEP_1) | instskip(SKIP_1) | instid1(VALU_DEP_2)
	v_sub_nc_u32_e32 v0, v0, v5
	v_add_nc_u32_e32 v5, 1, v4
	v_subrev_nc_u32_e32 v6, s33, v0
	v_cmp_le_u32_e32 vcc_lo, s33, v0
	s_delay_alu instid0(VALU_DEP_3) | instskip(NEXT) | instid1(VALU_DEP_3)
	v_cndmask_b32_e32 v4, v4, v5, vcc_lo
	v_cndmask_b32_e32 v0, v0, v6, vcc_lo
	v_ashrrev_i32_e32 v5, 31, v1
	s_delay_alu instid0(VALU_DEP_3) | instskip(NEXT) | instid1(VALU_DEP_3)
	v_add_nc_u32_e32 v6, 1, v4
	v_cmp_le_u32_e32 vcc_lo, s33, v0
	s_delay_alu instid0(VALU_DEP_3) | instskip(NEXT) | instid1(VALU_DEP_3)
	v_xor_b32_e32 v5, s43, v5
	v_cndmask_b32_e32 v0, v4, v6, vcc_lo
	s_delay_alu instid0(VALU_DEP_1) | instskip(NEXT) | instid1(VALU_DEP_1)
	v_xor_b32_e32 v0, v0, v5
	v_sub_nc_u32_e32 v4, v0, v5
	s_delay_alu instid0(VALU_DEP_1) | instskip(NEXT) | instid1(VALU_DEP_1)
	v_sub_nc_u32_e32 v0, 0, v4
	v_max_i32_e32 v0, v4, v0
	s_delay_alu instid0(VALU_DEP_1) | instskip(NEXT) | instid1(VALU_DEP_1)
	v_mul_hi_u32 v5, v0, v62
	v_mul_lo_u32 v6, v5, s38
	s_delay_alu instid0(VALU_DEP_1) | instskip(SKIP_1) | instid1(VALU_DEP_2)
	v_sub_nc_u32_e32 v0, v0, v6
	v_add_nc_u32_e32 v6, 1, v5
	v_subrev_nc_u32_e32 v7, s38, v0
	v_cmp_le_u32_e32 vcc_lo, s38, v0
	s_delay_alu instid0(VALU_DEP_2) | instskip(SKIP_1) | instid1(VALU_DEP_2)
	v_dual_cndmask_b32 v5, v5, v6 :: v_dual_cndmask_b32 v0, v0, v7
	v_ashrrev_i32_e32 v6, 31, v4
	v_add_nc_u32_e32 v7, 1, v5
	s_delay_alu instid0(VALU_DEP_3) | instskip(NEXT) | instid1(VALU_DEP_3)
	v_cmp_le_u32_e32 vcc_lo, s38, v0
	v_xor_b32_e32 v6, s44, v6
	s_delay_alu instid0(VALU_DEP_3) | instskip(NEXT) | instid1(VALU_DEP_1)
	v_cndmask_b32_e32 v0, v5, v7, vcc_lo
	v_xor_b32_e32 v0, v0, v6
	s_delay_alu instid0(VALU_DEP_1) | instskip(NEXT) | instid1(VALU_DEP_1)
	v_sub_nc_u32_e32 v5, v0, v6
	v_sub_nc_u32_e32 v0, 0, v5
	s_delay_alu instid0(VALU_DEP_1) | instskip(NEXT) | instid1(VALU_DEP_1)
	v_max_i32_e32 v0, v5, v0
	v_mul_hi_u32 v6, v0, v63
	s_delay_alu instid0(VALU_DEP_1) | instskip(NEXT) | instid1(VALU_DEP_1)
	v_mul_lo_u32 v7, v6, s7
	v_sub_nc_u32_e32 v0, v0, v7
	v_add_nc_u32_e32 v7, 1, v6
	s_delay_alu instid0(VALU_DEP_2) | instskip(SKIP_1) | instid1(VALU_DEP_3)
	v_subrev_nc_u32_e32 v8, s7, v0
	v_cmp_le_u32_e32 vcc_lo, s7, v0
	v_cndmask_b32_e32 v6, v6, v7, vcc_lo
	s_delay_alu instid0(VALU_DEP_3) | instskip(SKIP_1) | instid1(VALU_DEP_3)
	v_cndmask_b32_e32 v0, v0, v8, vcc_lo
	v_ashrrev_i32_e32 v7, 31, v5
	v_add_nc_u32_e32 v8, 1, v6
	s_delay_alu instid0(VALU_DEP_3) | instskip(NEXT) | instid1(VALU_DEP_3)
	v_cmp_le_u32_e32 vcc_lo, s7, v0
	v_xor_b32_e32 v7, s8, v7
	s_delay_alu instid0(VALU_DEP_3) | instskip(SKIP_1) | instid1(VALU_DEP_2)
	v_cndmask_b32_e32 v0, v6, v8, vcc_lo
	v_mul_lo_u32 v6, v1, s24
	v_xor_b32_e32 v0, v0, v7
	s_delay_alu instid0(VALU_DEP_2) | instskip(NEXT) | instid1(VALU_DEP_2)
	v_sub_nc_u32_e32 v64, v2, v6
	v_sub_nc_u32_e32 v68, v0, v7
	v_mul_lo_u32 v7, v4, s11
	s_delay_alu instid0(VALU_DEP_2) | instskip(NEXT) | instid1(VALU_DEP_2)
	v_mul_lo_u32 v0, v68, s9
	v_sub_nc_u32_e32 v65, v1, v7
	s_delay_alu instid0(VALU_DEP_2) | instskip(SKIP_1) | instid1(VALU_DEP_2)
	v_sub_nc_u32_e32 v66, v5, v0
	v_mul_lo_u32 v5, v5, s10
	v_mul_lo_u32 v0, v66, s42
	s_delay_alu instid0(VALU_DEP_2) | instskip(NEXT) | instid1(VALU_DEP_2)
	v_sub_nc_u32_e32 v67, v4, v5
	v_add_nc_u32_e32 v8, s42, v0
	s_delay_alu instid0(VALU_DEP_1)
	v_cmpx_lt_i32_e64 v0, v8
	s_cbranch_execz .LBB27_2
; %bb.4:                                ;   in Loop: Header=BB27_3 Depth=1
	v_mul_lo_u32 v0, s19, v0
	v_add_nc_u32_e32 v21, s16, v67
	v_mul_lo_u32 v5, s30, v68
	v_add_nc_u32_e32 v40, s17, v65
	v_add_nc_u32_e32 v4, s18, v64
	s_delay_alu instid0(VALU_DEP_4) | instskip(SKIP_2) | instid1(VALU_DEP_4)
	v_mul_lo_u32 v22, v21, s14
	v_cmp_gt_i32_e64 s5, s13, v21
	v_ashrrev_i32_e32 v1, 31, v0
	v_or_b32_e32 v9, v4, v40
	v_ashrrev_i32_e32 v6, 31, v5
	v_cmp_gt_i32_e64 s4, s14, v40
	v_add_nc_u32_e32 v58, -2, v4
	v_lshlrev_b64 v[0:1], 1, v[0:1]
	v_add_nc_u32_e32 v7, v40, v22
	v_lshlrev_b64 v[5:6], 1, v[5:6]
	v_add_nc_u32_e32 v44, -1, v40
	v_add_nc_u32_e32 v8, -2, v40
	;; [unrolled: 1-line block ×3, first 2 shown]
	v_add_co_u32 v0, vcc_lo, s36, v0
	v_mul_lo_u32 v11, v7, s15
	v_add_nc_u32_e32 v7, -1, v4
	v_add_co_ci_u32_e32 v1, vcc_lo, s37, v1, vcc_lo
	v_add_co_u32 v69, vcc_lo, s28, v5
	v_or_b32_e32 v5, v9, v21
	s_delay_alu instid0(VALU_DEP_4) | instskip(SKIP_2) | instid1(VALU_DEP_4)
	v_or_b32_e32 v10, v7, v40
	v_add_co_ci_u32_e32 v70, vcc_lo, s29, v6, vcc_lo
	v_cmp_gt_i32_e32 vcc_lo, s15, v4
	v_cmp_lt_i32_e64 s0, -1, v5
	s_delay_alu instid0(VALU_DEP_4)
	v_or_b32_e32 v12, v10, v21
	v_or_b32_e32 v14, v4, v44
	;; [unrolled: 1-line block ×4, first 2 shown]
	s_and_b32 s0, vcc_lo, s0
	v_cmp_lt_i32_e64 s1, -1, v12
	s_and_b32 s0, s0, s4
	v_or_b32_e32 v12, v58, v40
	s_and_b32 s47, s0, s5
	v_cmp_gt_i32_e64 s0, s15, v7
	v_or_b32_e32 v15, v16, v21
	v_or_b32_e32 v20, v4, v8
	;; [unrolled: 1-line block ×4, first 2 shown]
	s_and_b32 s1, s0, s1
	v_or_b32_e32 v25, v7, v8
	s_and_b32 s1, s1, s4
	v_cmp_lt_i32_e64 s2, -1, v13
	s_and_b32 s48, s1, s5
	v_cmp_gt_i32_e64 s1, s15, v58
	v_or_b32_e32 v13, v14, v21
	v_or_b32_e32 v31, v20, v21
	;; [unrolled: 1-line block ×4, first 2 shown]
	s_and_b32 s2, s1, s2
	v_cmp_lt_i32_e64 s3, -1, v13
	s_and_b32 s2, s2, s4
	v_or_b32_e32 v26, v10, v24
	s_and_b32 s49, s2, s5
	v_cmp_gt_i32_e64 s2, s14, v44
	s_and_b32 s3, vcc_lo, s3
	s_and_b32 s65, vcc_lo, s4
	v_or_b32_e32 v28, v12, v24
	v_or_b32_e32 v29, v14, v24
	s_and_b32 s6, s3, s2
	v_cmp_lt_i32_e64 s3, -1, v15
	s_and_b32 s50, s6, s5
	v_cmp_lt_i32_e64 s6, -1, v31
	v_or_b32_e32 v31, v25, v21
	s_and_b32 s66, s0, s4
	s_and_b32 s3, s0, s3
	v_or_b32_e32 v30, v16, v24
	s_and_b32 s3, s3, s2
	s_and_b32 s53, vcc_lo, s6
	s_and_b32 s51, s3, s5
	v_cmp_lt_i32_e64 s3, -1, v19
	v_cmp_lt_i32_e64 s6, -1, v31
	v_or_b32_e32 v31, v27, v21
	s_and_b32 s67, s1, s4
	v_cmp_lt_i32_e64 s4, -1, v29
	s_and_b32 s3, s1, s3
	s_and_b32 s6, s0, s6
	;; [unrolled: 1-line block ×3, first 2 shown]
	v_or_b32_e32 v32, v17, v24
	s_and_b32 s52, s3, s5
	v_cmp_gt_i32_e64 s3, s14, v8
	s_and_b32 s4, vcc_lo, s4
	v_or_b32_e32 v34, v20, v24
	s_and_b32 s4, s4, s2
	v_or_b32_e32 v36, v25, v24
	s_and_b32 s6, s6, s3
	s_and_b32 s53, s53, s3
	;; [unrolled: 1-line block ×3, first 2 shown]
	v_cmp_lt_i32_e64 s6, -1, v31
	s_and_b32 s53, s53, s5
	v_or_b32_e32 v41, v27, v24
	v_add_nc_u32_e32 v42, -2, v21
	v_subrev_nc_u32_e32 v39, s14, v22
	s_and_b32 s6, s1, s6
	v_add_nc_u32_e32 v19, v8, v22
	s_and_b32 s55, s6, s3
	v_cmp_lt_i32_e64 s6, -1, v23
	s_and_b32 s55, s55, s5
	v_cmp_gt_i32_e64 s5, s13, v24
	v_or_b32_e32 v43, v9, v42
	v_or_b32_e32 v45, v10, v42
	s_and_b32 s56, s65, s6
	v_cmp_lt_i32_e64 s6, -1, v26
	s_and_b32 s59, s4, s5
	v_cmp_lt_i32_e64 s4, -1, v32
	v_or_b32_e32 v46, v12, v42
	s_and_b32 s56, s56, s5
	s_and_b32 s57, s66, s6
	v_cmp_lt_i32_e64 s6, -1, v28
	s_and_b32 s57, s57, s5
	v_or_b32_e32 v47, v14, v42
	v_or_b32_e32 v48, v16, v42
	;; [unrolled: 1-line block ×3, first 2 shown]
	s_and_b32 s6, s67, s6
	v_subrev_nc_u32_e32 v51, s14, v39
	s_and_b32 s58, s6, s5
	v_cmp_lt_i32_e64 s6, -1, v30
	v_or_b32_e32 v52, v20, v42
	v_add_nc_u32_e32 v12, v44, v22
	v_or_b32_e32 v56, v25, v42
	v_add_nc_u32_e32 v25, v40, v39
	s_and_b32 s6, s0, s6
	v_add_nc_u32_e32 v28, v44, v39
	s_and_b32 s6, s6, s2
	;; [unrolled: 2-line block ×3, first 2 shown]
	s_and_b32 s6, s1, s4
	v_cmp_lt_i32_e64 s4, -1, v34
	s_and_b32 s6, s6, s2
	v_add_nc_u32_e32 v8, v8, v51
	s_and_b32 s61, s6, s5
	v_mul_lo_u32 v18, v12, s15
	s_and_b32 s4, vcc_lo, s4
	v_mul_lo_u32 v33, v19, s15
	s_and_b32 s6, s4, s3
	v_cmp_lt_i32_e64 s4, -1, v36
	s_and_b32 s62, s6, s5
	v_mul_lo_u32 v31, v25, s15
	v_mul_lo_u32 v35, v28, s15
	v_mul_lo_u32 v49, v37, s15
	s_and_b32 s6, s0, s4
	v_cmp_lt_i32_e64 s4, -1, v41
	s_and_b32 s6, s6, s3
	v_add_nc_u32_e32 v41, v40, v51
	s_and_b32 s63, s6, s5
	v_mul_lo_u32 v8, v8, s15
	s_and_b32 s4, s1, s4
	v_or_b32_e32 v57, v27, v42
	s_and_b32 s6, s4, s3
	v_cmp_lt_i32_e64 s4, -1, v43
	s_and_b32 s64, s6, s5
	v_cmp_gt_i32_e64 s5, s13, v42
	v_cmp_lt_i32_e64 s6, -1, v45
	v_mul_lo_u32 v53, v41, s15
	s_and_b32 s4, s65, s4
	v_add_nc_u32_e32 v5, v4, v11
	s_and_b32 s65, s4, s5
	v_cmp_lt_i32_e64 s4, -1, v46
	s_and_b32 s6, s66, s6
	v_add_nc_u32_e32 v46, v44, v51
	s_and_b32 s66, s6, s5
	v_add_nc_u32_e32 v9, v7, v11
	s_and_b32 s6, s67, s4
	v_cmp_lt_i32_e64 s4, -1, v47
	s_and_b32 s67, s6, s5
	v_cmp_lt_i32_e64 s6, -1, v48
	v_mul_lo_u32 v54, v46, s15
	v_add_nc_u32_e32 v11, v58, v11
	s_and_b32 s4, vcc_lo, s4
	v_add_nc_u32_e32 v13, v4, v18
	s_and_b32 s4, s4, s2
	s_and_b32 s68, s0, s6
	;; [unrolled: 1-line block ×3, first 2 shown]
	v_cmp_lt_i32_e64 s4, -1, v50
	s_and_b32 s68, s68, s2
	v_add_nc_u32_e32 v15, v7, v18
	v_add_nc_u32_e32 v17, v58, v18
	;; [unrolled: 1-line block ×3, first 2 shown]
	s_and_b32 s69, s1, s4
	v_cmp_lt_i32_e64 s4, -1, v52
	s_and_b32 s2, s69, s2
	v_add_nc_u32_e32 v21, v7, v33
	s_and_b32 s69, s2, s5
	v_add_nc_u32_e32 v23, v58, v33
	s_and_b32 s2, vcc_lo, s4
	v_add_nc_u32_e32 v25, v4, v31
	s_and_b32 s2, s2, s3
	v_add_nc_u32_e32 v27, v7, v31
	v_add_nc_u32_e32 v29, v58, v31
	;; [unrolled: 1-line block ×15, first 2 shown]
	s_and_b32 s4, s2, s5
	v_cmp_lt_i32_e64 s2, -1, v57
	v_add_nc_u32_e32 v57, v7, v8
	v_add_nc_u32_e32 v71, v58, v8
	v_ashrrev_i32_e32 v6, 31, v5
	v_ashrrev_i32_e32 v10, 31, v9
	;; [unrolled: 1-line block ×24, first 2 shown]
	v_cmp_lt_i32_e32 vcc_lo, -1, v56
	v_ashrrev_i32_e32 v56, 31, v55
	v_ashrrev_i32_e32 v58, 31, v57
	;; [unrolled: 1-line block ×3, first 2 shown]
	v_mul_lo_u32 v4, s45, v66
	s_and_b32 s0, s0, vcc_lo
	s_and_b32 s1, s1, s2
	v_lshlrev_b64 v[6:7], 1, v[5:6]
	v_lshlrev_b64 v[8:9], 1, v[9:10]
	;; [unrolled: 1-line block ×27, first 2 shown]
	v_mov_b32_e32 v71, 0
	s_and_b32 s0, s0, s3
	s_and_b32 s1, s1, s3
	s_and_b32 s68, s68, s5
	s_and_b32 s0, s0, s5
	s_and_b32 s1, s1, s5
	s_mov_b32 s2, s42
	s_branch .LBB27_6
.LBB27_5:                               ;   in Loop: Header=BB27_6 Depth=2
	s_or_b32 exec_lo, exec_lo, s3
	s_waitcnt vmcnt(25)
	v_lshlrev_b32_e32 v73, 16, v76
	v_lshlrev_b32_e32 v72, 16, v72
	v_add_co_u32 v0, vcc_lo, v0, 54
	v_add_co_ci_u32_e32 v1, vcc_lo, 0, v1, vcc_lo
	s_delay_alu instid0(VALU_DEP_3)
	v_fmac_f32_e32 v71, v5, v72
	s_waitcnt vmcnt(24)
	v_lshlrev_b32_e32 v5, 16, v78
	s_add_i32 s2, s2, -1
	v_add_nc_u32_e32 v4, s31, v4
	s_cmp_eq_u32 s2, 0
	s_waitcnt vmcnt(23)
	v_dual_fmac_f32 v71, v77, v73 :: v_dual_lshlrev_b32 v72, 16, v80
	s_delay_alu instid0(VALU_DEP_1) | instskip(SKIP_2) | instid1(VALU_DEP_2)
	v_fmac_f32_e32 v71, v75, v5
	s_waitcnt vmcnt(22)
	v_lshlrev_b32_e32 v5, 16, v82
	v_fmac_f32_e32 v71, v81, v72
	s_waitcnt vmcnt(21)
	s_delay_alu instid0(VALU_DEP_1) | instskip(SKIP_2) | instid1(VALU_DEP_2)
	v_dual_fmac_f32 v71, v79, v5 :: v_dual_lshlrev_b32 v72, 16, v84
	s_waitcnt vmcnt(20)
	v_lshlrev_b32_e32 v5, 16, v86
	v_fmac_f32_e32 v71, v85, v72
	s_waitcnt vmcnt(19)
	s_delay_alu instid0(VALU_DEP_1) | instskip(SKIP_2) | instid1(VALU_DEP_2)
	v_dual_fmac_f32 v71, v83, v5 :: v_dual_lshlrev_b32 v72, 16, v88
	;; [unrolled: 6-line block ×11, first 2 shown]
	s_waitcnt vmcnt(0)
	v_lshlrev_b32_e32 v5, 16, v126
	v_fmac_f32_e32 v71, v125, v72
	s_delay_alu instid0(VALU_DEP_1)
	v_fmac_f32_e32 v71, v123, v5
	s_cbranch_scc1 .LBB27_2
.LBB27_6:                               ;   Parent Loop BB27_3 Depth=1
                                        ; =>  This Inner Loop Header: Depth=2
	global_load_u16 v72, v[0:1], off
	v_ashrrev_i32_e32 v5, 31, v4
	s_delay_alu instid0(VALU_DEP_1) | instskip(SKIP_1) | instid1(VALU_DEP_2)
	v_lshlrev_b64 v[73:74], 1, v[4:5]
	v_mov_b32_e32 v5, 0
	v_add_co_u32 v73, vcc_lo, v69, v73
	s_delay_alu instid0(VALU_DEP_3)
	v_add_co_ci_u32_e32 v74, vcc_lo, v70, v74, vcc_lo
	s_and_saveexec_b32 s3, s47
	s_cbranch_execz .LBB27_8
; %bb.7:                                ;   in Loop: Header=BB27_6 Depth=2
	s_delay_alu instid0(VALU_DEP_2) | instskip(NEXT) | instid1(VALU_DEP_2)
	v_add_co_u32 v75, vcc_lo, v73, v6
	v_add_co_ci_u32_e32 v76, vcc_lo, v74, v7, vcc_lo
	global_load_u16 v5, v[75:76], off
	s_waitcnt vmcnt(0)
	v_lshlrev_b32_e32 v5, 16, v5
.LBB27_8:                               ;   in Loop: Header=BB27_6 Depth=2
	s_or_b32 exec_lo, exec_lo, s3
	global_load_u16 v76, v[0:1], off offset:2
	v_mov_b32_e32 v75, 0
	v_mov_b32_e32 v77, 0
	s_and_saveexec_b32 s3, s48
	s_cbranch_execz .LBB27_10
; %bb.9:                                ;   in Loop: Header=BB27_6 Depth=2
	v_add_co_u32 v77, vcc_lo, v73, v8
	v_add_co_ci_u32_e32 v78, vcc_lo, v74, v9, vcc_lo
	global_load_u16 v77, v[77:78], off
	s_waitcnt vmcnt(0)
	v_lshlrev_b32_e32 v77, 16, v77
.LBB27_10:                              ;   in Loop: Header=BB27_6 Depth=2
	s_or_b32 exec_lo, exec_lo, s3
	global_load_u16 v78, v[0:1], off offset:4
	s_and_saveexec_b32 s3, s49
	s_cbranch_execz .LBB27_12
; %bb.11:                               ;   in Loop: Header=BB27_6 Depth=2
	v_add_co_u32 v79, vcc_lo, v73, v10
	v_add_co_ci_u32_e32 v80, vcc_lo, v74, v11, vcc_lo
	global_load_u16 v75, v[79:80], off
	s_waitcnt vmcnt(0)
	v_lshlrev_b32_e32 v75, 16, v75
.LBB27_12:                              ;   in Loop: Header=BB27_6 Depth=2
	s_or_b32 exec_lo, exec_lo, s3
	global_load_u16 v80, v[0:1], off offset:6
	v_mov_b32_e32 v79, 0
	v_mov_b32_e32 v81, 0
	s_and_saveexec_b32 s3, s50
	s_cbranch_execz .LBB27_14
; %bb.13:                               ;   in Loop: Header=BB27_6 Depth=2
	v_add_co_u32 v81, vcc_lo, v73, v12
	v_add_co_ci_u32_e32 v82, vcc_lo, v74, v13, vcc_lo
	global_load_u16 v81, v[81:82], off
	s_waitcnt vmcnt(0)
	v_lshlrev_b32_e32 v81, 16, v81
.LBB27_14:                              ;   in Loop: Header=BB27_6 Depth=2
	s_or_b32 exec_lo, exec_lo, s3
	global_load_u16 v82, v[0:1], off offset:8
	s_and_saveexec_b32 s3, s51
	s_cbranch_execz .LBB27_16
; %bb.15:                               ;   in Loop: Header=BB27_6 Depth=2
	v_add_co_u32 v83, vcc_lo, v73, v14
	v_add_co_ci_u32_e32 v84, vcc_lo, v74, v15, vcc_lo
	global_load_u16 v79, v[83:84], off
	s_waitcnt vmcnt(0)
	v_lshlrev_b32_e32 v79, 16, v79
.LBB27_16:                              ;   in Loop: Header=BB27_6 Depth=2
	s_or_b32 exec_lo, exec_lo, s3
	global_load_u16 v84, v[0:1], off offset:10
	v_mov_b32_e32 v83, 0
	v_mov_b32_e32 v85, 0
	s_and_saveexec_b32 s3, s52
	s_cbranch_execz .LBB27_18
; %bb.17:                               ;   in Loop: Header=BB27_6 Depth=2
	v_add_co_u32 v85, vcc_lo, v73, v16
	v_add_co_ci_u32_e32 v86, vcc_lo, v74, v17, vcc_lo
	global_load_u16 v85, v[85:86], off
	s_waitcnt vmcnt(0)
	v_lshlrev_b32_e32 v85, 16, v85
.LBB27_18:                              ;   in Loop: Header=BB27_6 Depth=2
	;; [unrolled: 24-line block ×12, first 2 shown]
	s_or_b32 exec_lo, exec_lo, s3
	global_load_u16 v126, v[0:1], off offset:52
	s_and_saveexec_b32 s3, s1
	s_cbranch_execz .LBB27_5
; %bb.59:                               ;   in Loop: Header=BB27_6 Depth=2
	v_add_co_u32 v73, vcc_lo, v73, v58
	v_add_co_ci_u32_e32 v74, vcc_lo, v74, v59, vcc_lo
	global_load_u16 v73, v[73:74], off
	s_waitcnt vmcnt(0)
	v_lshlrev_b32_e32 v123, 16, v73
	s_branch .LBB27_5
.LBB27_60:
	s_nop 0
	s_sendmsg sendmsg(MSG_DEALLOC_VGPRS)
	s_endpgm
	.section	.rodata,"a",@progbits
	.p2align	6, 0x0
	.amdhsa_kernel _ZN2at6native12_GLOBAL__N_143conv_depthwise3d_cuda_backward_input_kernelIN3c108BFloat16EfLi3ELi3ELi3ELi1ELi1ELi1ELi1ELi1ELi1EEEvN5torch10headeronly6detail27GenericPackedTensorAccessorINS7_14TensorAccessorINS3_8ArrayRefIlEEKT_Lm4ENS6_16DefaultPtrTraitsEiEENS_6detail16IndexBoundsCheckILm5EiEESD_Lm5ESE_iEENS8_INS9_ISB_SC_Lm4ESE_iEESI_SC_Lm5ESE_iEESJ_iiiiiiiii
		.amdhsa_group_segment_fixed_size 0
		.amdhsa_private_segment_fixed_size 0
		.amdhsa_kernarg_size 440
		.amdhsa_user_sgpr_count 15
		.amdhsa_user_sgpr_dispatch_ptr 0
		.amdhsa_user_sgpr_queue_ptr 0
		.amdhsa_user_sgpr_kernarg_segment_ptr 1
		.amdhsa_user_sgpr_dispatch_id 0
		.amdhsa_user_sgpr_private_segment_size 0
		.amdhsa_wavefront_size32 1
		.amdhsa_uses_dynamic_stack 0
		.amdhsa_enable_private_segment 0
		.amdhsa_system_sgpr_workgroup_id_x 1
		.amdhsa_system_sgpr_workgroup_id_y 0
		.amdhsa_system_sgpr_workgroup_id_z 0
		.amdhsa_system_sgpr_workgroup_info 0
		.amdhsa_system_vgpr_workitem_id 0
		.amdhsa_next_free_vgpr 127
		.amdhsa_next_free_sgpr 70
		.amdhsa_reserve_vcc 1
		.amdhsa_float_round_mode_32 0
		.amdhsa_float_round_mode_16_64 0
		.amdhsa_float_denorm_mode_32 3
		.amdhsa_float_denorm_mode_16_64 3
		.amdhsa_dx10_clamp 1
		.amdhsa_ieee_mode 1
		.amdhsa_fp16_overflow 0
		.amdhsa_workgroup_processor_mode 1
		.amdhsa_memory_ordered 1
		.amdhsa_forward_progress 0
		.amdhsa_shared_vgpr_count 0
		.amdhsa_exception_fp_ieee_invalid_op 0
		.amdhsa_exception_fp_denorm_src 0
		.amdhsa_exception_fp_ieee_div_zero 0
		.amdhsa_exception_fp_ieee_overflow 0
		.amdhsa_exception_fp_ieee_underflow 0
		.amdhsa_exception_fp_ieee_inexact 0
		.amdhsa_exception_int_div_zero 0
	.end_amdhsa_kernel
	.section	.text._ZN2at6native12_GLOBAL__N_143conv_depthwise3d_cuda_backward_input_kernelIN3c108BFloat16EfLi3ELi3ELi3ELi1ELi1ELi1ELi1ELi1ELi1EEEvN5torch10headeronly6detail27GenericPackedTensorAccessorINS7_14TensorAccessorINS3_8ArrayRefIlEEKT_Lm4ENS6_16DefaultPtrTraitsEiEENS_6detail16IndexBoundsCheckILm5EiEESD_Lm5ESE_iEENS8_INS9_ISB_SC_Lm4ESE_iEESI_SC_Lm5ESE_iEESJ_iiiiiiiii,"axG",@progbits,_ZN2at6native12_GLOBAL__N_143conv_depthwise3d_cuda_backward_input_kernelIN3c108BFloat16EfLi3ELi3ELi3ELi1ELi1ELi1ELi1ELi1ELi1EEEvN5torch10headeronly6detail27GenericPackedTensorAccessorINS7_14TensorAccessorINS3_8ArrayRefIlEEKT_Lm4ENS6_16DefaultPtrTraitsEiEENS_6detail16IndexBoundsCheckILm5EiEESD_Lm5ESE_iEENS8_INS9_ISB_SC_Lm4ESE_iEESI_SC_Lm5ESE_iEESJ_iiiiiiiii,comdat
.Lfunc_end27:
	.size	_ZN2at6native12_GLOBAL__N_143conv_depthwise3d_cuda_backward_input_kernelIN3c108BFloat16EfLi3ELi3ELi3ELi1ELi1ELi1ELi1ELi1ELi1EEEvN5torch10headeronly6detail27GenericPackedTensorAccessorINS7_14TensorAccessorINS3_8ArrayRefIlEEKT_Lm4ENS6_16DefaultPtrTraitsEiEENS_6detail16IndexBoundsCheckILm5EiEESD_Lm5ESE_iEENS8_INS9_ISB_SC_Lm4ESE_iEESI_SC_Lm5ESE_iEESJ_iiiiiiiii, .Lfunc_end27-_ZN2at6native12_GLOBAL__N_143conv_depthwise3d_cuda_backward_input_kernelIN3c108BFloat16EfLi3ELi3ELi3ELi1ELi1ELi1ELi1ELi1ELi1EEEvN5torch10headeronly6detail27GenericPackedTensorAccessorINS7_14TensorAccessorINS3_8ArrayRefIlEEKT_Lm4ENS6_16DefaultPtrTraitsEiEENS_6detail16IndexBoundsCheckILm5EiEESD_Lm5ESE_iEENS8_INS9_ISB_SC_Lm4ESE_iEESI_SC_Lm5ESE_iEESJ_iiiiiiiii
                                        ; -- End function
	.section	.AMDGPU.csdata,"",@progbits
; Kernel info:
; codeLenInByte = 4596
; NumSgprs: 72
; NumVgprs: 127
; ScratchSize: 0
; MemoryBound: 0
; FloatMode: 240
; IeeeMode: 1
; LDSByteSize: 0 bytes/workgroup (compile time only)
; SGPRBlocks: 8
; VGPRBlocks: 15
; NumSGPRsForWavesPerEU: 72
; NumVGPRsForWavesPerEU: 127
; Occupancy: 10
; WaveLimiterHint : 0
; COMPUTE_PGM_RSRC2:SCRATCH_EN: 0
; COMPUTE_PGM_RSRC2:USER_SGPR: 15
; COMPUTE_PGM_RSRC2:TRAP_HANDLER: 0
; COMPUTE_PGM_RSRC2:TGID_X_EN: 1
; COMPUTE_PGM_RSRC2:TGID_Y_EN: 0
; COMPUTE_PGM_RSRC2:TGID_Z_EN: 0
; COMPUTE_PGM_RSRC2:TIDIG_COMP_CNT: 0
	.section	.text._ZN2at6native12_GLOBAL__N_143conv_depthwise3d_cuda_backward_input_kernelIN3c108BFloat16EfLi3ELi3ELi3ELi1ELi1ELi1ELin1ELin1ELin1EEEvN5torch10headeronly6detail27GenericPackedTensorAccessorINS7_14TensorAccessorINS3_8ArrayRefIlEEKT_Lm4ENS6_16DefaultPtrTraitsEiEENS_6detail16IndexBoundsCheckILm5EiEESD_Lm5ESE_iEENS8_INS9_ISB_SC_Lm4ESE_iEESI_SC_Lm5ESE_iEESJ_iiiiiiiii,"axG",@progbits,_ZN2at6native12_GLOBAL__N_143conv_depthwise3d_cuda_backward_input_kernelIN3c108BFloat16EfLi3ELi3ELi3ELi1ELi1ELi1ELin1ELin1ELin1EEEvN5torch10headeronly6detail27GenericPackedTensorAccessorINS7_14TensorAccessorINS3_8ArrayRefIlEEKT_Lm4ENS6_16DefaultPtrTraitsEiEENS_6detail16IndexBoundsCheckILm5EiEESD_Lm5ESE_iEENS8_INS9_ISB_SC_Lm4ESE_iEESI_SC_Lm5ESE_iEESJ_iiiiiiiii,comdat
	.globl	_ZN2at6native12_GLOBAL__N_143conv_depthwise3d_cuda_backward_input_kernelIN3c108BFloat16EfLi3ELi3ELi3ELi1ELi1ELi1ELin1ELin1ELin1EEEvN5torch10headeronly6detail27GenericPackedTensorAccessorINS7_14TensorAccessorINS3_8ArrayRefIlEEKT_Lm4ENS6_16DefaultPtrTraitsEiEENS_6detail16IndexBoundsCheckILm5EiEESD_Lm5ESE_iEENS8_INS9_ISB_SC_Lm4ESE_iEESI_SC_Lm5ESE_iEESJ_iiiiiiiii ; -- Begin function _ZN2at6native12_GLOBAL__N_143conv_depthwise3d_cuda_backward_input_kernelIN3c108BFloat16EfLi3ELi3ELi3ELi1ELi1ELi1ELin1ELin1ELin1EEEvN5torch10headeronly6detail27GenericPackedTensorAccessorINS7_14TensorAccessorINS3_8ArrayRefIlEEKT_Lm4ENS6_16DefaultPtrTraitsEiEENS_6detail16IndexBoundsCheckILm5EiEESD_Lm5ESE_iEENS8_INS9_ISB_SC_Lm4ESE_iEESI_SC_Lm5ESE_iEESJ_iiiiiiiii
	.p2align	8
	.type	_ZN2at6native12_GLOBAL__N_143conv_depthwise3d_cuda_backward_input_kernelIN3c108BFloat16EfLi3ELi3ELi3ELi1ELi1ELi1ELin1ELin1ELin1EEEvN5torch10headeronly6detail27GenericPackedTensorAccessorINS7_14TensorAccessorINS3_8ArrayRefIlEEKT_Lm4ENS6_16DefaultPtrTraitsEiEENS_6detail16IndexBoundsCheckILm5EiEESD_Lm5ESE_iEENS8_INS9_ISB_SC_Lm4ESE_iEESI_SC_Lm5ESE_iEESJ_iiiiiiiii,@function
_ZN2at6native12_GLOBAL__N_143conv_depthwise3d_cuda_backward_input_kernelIN3c108BFloat16EfLi3ELi3ELi3ELi1ELi1ELi1ELin1ELin1ELin1EEEvN5torch10headeronly6detail27GenericPackedTensorAccessorINS7_14TensorAccessorINS3_8ArrayRefIlEEKT_Lm4ENS6_16DefaultPtrTraitsEiEENS_6detail16IndexBoundsCheckILm5EiEESD_Lm5ESE_iEENS8_INS9_ISB_SC_Lm4ESE_iEESI_SC_Lm5ESE_iEESJ_iiiiiiiii: ; @_ZN2at6native12_GLOBAL__N_143conv_depthwise3d_cuda_backward_input_kernelIN3c108BFloat16EfLi3ELi3ELi3ELi1ELi1ELi1ELin1ELin1ELin1EEEvN5torch10headeronly6detail27GenericPackedTensorAccessorINS7_14TensorAccessorINS3_8ArrayRefIlEEKT_Lm4ENS6_16DefaultPtrTraitsEiEENS_6detail16IndexBoundsCheckILm5EiEESD_Lm5ESE_iEENS8_INS9_ISB_SC_Lm4ESE_iEESI_SC_Lm5ESE_iEESJ_iiiiiiiii
; %bb.0:
	s_clause 0x2
	s_load_b128 s[44:47], s[0:1], 0x38
	s_load_b32 s4, s[0:1], 0xc4
	s_load_b64 s[60:61], s[0:1], 0x48
	s_mov_b32 s6, exec_lo
	s_waitcnt lgkmcnt(0)
	s_abs_i32 s74, s45
	s_add_u32 s2, s0, 0xb8
	v_cvt_f32_u32_e32 v1, s74
	s_addc_u32 s3, s1, 0
	s_and_b32 s4, s4, 0xffff
	s_mul_i32 s62, s61, s44
	s_delay_alu instid0(SALU_CYCLE_1) | instskip(SKIP_3) | instid1(VALU_DEP_1)
	s_ashr_i32 s63, s62, 31
	v_rcp_iflag_f32_e32 v2, v1
	s_waitcnt_depctr 0xfff
	v_dual_mov_b32 v1, 0 :: v_dual_mul_f32 v4, 0x4f7ffffe, v2
	v_mad_u64_u32 v[2:3], null, s4, s15, v[0:1]
	s_delay_alu instid0(VALU_DEP_2) | instskip(NEXT) | instid1(VALU_DEP_1)
	v_cvt_u32_f32_e32 v0, v4
	v_readfirstlane_b32 s5, v0
	s_delay_alu instid0(VALU_DEP_3)
	v_cmpx_gt_i64_e64 s[62:63], v[2:3]
	s_cbranch_execz .LBB28_60
; %bb.1:
	s_load_b64 s[8:9], s[0:1], 0xa0
	s_load_b32 s2, s[2:3], 0x0
	s_clause 0x2
	s_load_b128 s[52:55], s[0:1], 0x90
	s_load_b32 s3, s[0:1], 0x7c
	s_load_b128 s[48:51], s[0:1], 0xc
                                        ; implicit-def: $vgpr130 : SGPR spill to VGPR lane
	s_sub_i32 s6, 0, s74
	s_clause 0x3
	s_load_b64 s[68:69], s[0:1], 0x1c
	s_load_b64 s[70:71], s[0:1], 0x30
	;; [unrolled: 1-line block ×3, first 2 shown]
	s_load_b128 s[56:59], s[0:1], 0x50
	s_ashr_i32 s75, s45, 31
	v_mul_lo_u32 v1, s6, v0
	s_mov_b32 s76, 0
	s_delay_alu instid0(VALU_DEP_1) | instskip(SKIP_2) | instid1(VALU_DEP_2)
	v_mul_hi_u32 v1, v0, v1
	s_waitcnt lgkmcnt(0)
	v_writelane_b32 v130, s8, 0
	v_add_nc_u32_e32 v63, v0, v1
	v_writelane_b32 v130, s9, 1
	s_load_b64 s[8:9], s[0:1], 0x0
	s_ashr_i32 s1, s48, 31
	s_delay_alu instid0(SALU_CYCLE_1) | instskip(SKIP_2) | instid1(SALU_CYCLE_1)
	s_xor_b32 s1, s1, s75
	v_writelane_b32 v130, s3, 2
	s_mul_i32 s3, s6, s5
	s_mul_hi_u32 s3, s5, s3
	s_delay_alu instid0(SALU_CYCLE_1) | instskip(SKIP_3) | instid1(SALU_CYCLE_1)
	s_add_i32 s5, s5, s3
	s_abs_i32 s3, s48
	s_mul_i32 s48, s2, s4
	s_mul_hi_u32 s0, s3, s5
	s_mul_i32 s5, s0, s74
	s_delay_alu instid0(SALU_CYCLE_1)
	s_sub_i32 s3, s3, s5
	s_add_i32 s5, s0, 1
	s_sub_i32 s7, s3, s74
	s_cmp_ge_u32 s3, s74
	s_waitcnt lgkmcnt(0)
	v_writelane_b32 v130, s8, 3
	s_cselect_b32 s0, s5, s0
	s_cselect_b32 s3, s7, s3
	s_add_i32 s5, s0, 1
	s_cmp_ge_u32 s3, s74
	v_writelane_b32 v130, s9, 4
	s_cselect_b32 s0, s5, s0
	s_abs_i32 s79, s60
	s_abs_i32 s80, s47
	v_cvt_f32_u32_e32 v4, s79
	v_cvt_f32_u32_e32 v5, s80
	s_abs_i32 s81, s46
	s_abs_i32 s82, s52
	;; [unrolled: 1-line block ×3, first 2 shown]
	v_rcp_iflag_f32_e32 v4, v4
	s_abs_i32 s84, s54
	v_cvt_f32_u32_e32 v6, s81
	v_cvt_f32_u32_e32 v7, s82
	;; [unrolled: 1-line block ×4, first 2 shown]
	v_rcp_iflag_f32_e32 v5, v5
	v_rcp_iflag_f32_e32 v6, v6
	v_rcp_iflag_f32_e32 v7, v7
	v_rcp_iflag_f32_e32 v8, v8
	v_rcp_iflag_f32_e32 v9, v9
	v_mul_f32_e32 v4, 0x4f7ffffe, v4
	s_sub_i32 s2, 0, s79
	s_sub_i32 s3, 0, s80
	;; [unrolled: 1-line block ×4, first 2 shown]
	v_mul_f32_e32 v5, 0x4f7ffffe, v5
	v_cvt_u32_f32_e32 v4, v4
	v_dual_mul_f32 v6, 0x4f7ffffe, v6 :: v_dual_mul_f32 v7, 0x4f7ffffe, v7
	s_waitcnt_depctr 0xfff
	v_dual_mul_f32 v8, 0x4f7ffffe, v8 :: v_dual_mul_f32 v9, 0x4f7ffffe, v9
	v_mul_lo_u32 v10, s2, v4
	v_cvt_u32_f32_e32 v5, v5
	v_cvt_u32_f32_e32 v6, v6
	;; [unrolled: 1-line block ×5, first 2 shown]
	s_sub_i32 s6, 0, s83
	s_sub_i32 s2, 0, s84
	v_mul_lo_u32 v11, s3, v5
	v_mul_hi_u32 v10, v4, v10
	v_mul_lo_u32 v12, s4, v6
	v_mul_lo_u32 v13, s5, v7
	;; [unrolled: 1-line block ×4, first 2 shown]
	s_xor_b32 s0, s0, s1
	s_ashr_i32 s78, s60, 31
	v_mul_hi_u32 v11, v5, v11
	v_add_nc_u32_e32 v60, v4, v10
	v_mul_hi_u32 v4, v6, v12
	v_mul_hi_u32 v10, v7, v13
	;; [unrolled: 1-line block ×4, first 2 shown]
	s_sub_i32 s85, s0, s1
	s_ashr_i32 s86, s47, 31
	v_add_nc_u32_e32 v61, v5, v11
	s_ashr_i32 s87, s46, 31
	v_add_nc_u32_e32 v62, v6, v4
	v_add_nc_u32_e32 v64, v7, v10
	;; [unrolled: 1-line block ×4, first 2 shown]
	s_ashr_i32 s88, s52, 31
	s_ashr_i32 s89, s53, 31
	;; [unrolled: 1-line block ×3, first 2 shown]
	s_branch .LBB28_3
.LBB28_2:                               ;   in Loop: Header=BB28_3 Depth=1
	s_or_b32 exec_lo, exec_lo, s92
	v_mul_lo_u32 v0, v71, s61
	v_mul_lo_u32 v4, s56, v69
	v_bfe_u32 v5, v74, 16, 1
	v_mul_lo_u32 v6, s57, v70
	v_mul_lo_u32 v8, s58, v68
	;; [unrolled: 1-line block ×3, first 2 shown]
	s_delay_alu instid0(VALU_DEP_4) | instskip(SKIP_3) | instid1(VALU_DEP_4)
	v_add3_u32 v12, v74, v5, 0x7fff
	v_ashrrev_i32_e32 v1, 31, v0
	v_ashrrev_i32_e32 v5, 31, v4
	;; [unrolled: 1-line block ×3, first 2 shown]
	v_lshrrev_b32_e32 v12, 16, v12
	s_delay_alu instid0(VALU_DEP_4) | instskip(NEXT) | instid1(VALU_DEP_4)
	v_lshlrev_b64 v[0:1], 1, v[0:1]
	v_lshlrev_b64 v[4:5], 1, v[4:5]
	v_ashrrev_i32_e32 v9, 31, v8
	v_ashrrev_i32_e32 v11, 31, v10
	s_delay_alu instid0(VALU_DEP_4) | instskip(SKIP_2) | instid1(VALU_DEP_3)
	v_add_co_u32 v13, vcc_lo, s70, v0
	v_add_co_ci_u32_e32 v14, vcc_lo, s71, v1, vcc_lo
	v_lshlrev_b64 v[0:1], 1, v[6:7]
	v_add_co_u32 v4, vcc_lo, v13, v4
	s_delay_alu instid0(VALU_DEP_3) | instskip(SKIP_2) | instid1(VALU_DEP_4)
	v_add_co_ci_u32_e32 v5, vcc_lo, v14, v5, vcc_lo
	v_cmp_o_f32_e32 vcc_lo, v74, v74
	v_cndmask_b32_e32 v6, 0x7fc0, v12, vcc_lo
	v_add_co_u32 v7, vcc_lo, v4, v0
	s_delay_alu instid0(VALU_DEP_4) | instskip(SKIP_4) | instid1(VALU_DEP_4)
	v_add_co_ci_u32_e32 v12, vcc_lo, v5, v1, vcc_lo
	v_lshlrev_b64 v[0:1], 1, v[8:9]
	v_add_co_u32 v2, vcc_lo, v2, s48
	v_lshlrev_b64 v[4:5], 1, v[10:11]
	v_add_co_ci_u32_e32 v3, vcc_lo, 0, v3, vcc_lo
	v_add_co_u32 v0, vcc_lo, v7, v0
	v_add_co_ci_u32_e32 v1, vcc_lo, v12, v1, vcc_lo
	s_delay_alu instid0(VALU_DEP_3) | instskip(NEXT) | instid1(VALU_DEP_3)
	v_cmp_le_i64_e32 vcc_lo, s[62:63], v[2:3]
	v_add_co_u32 v0, s0, v0, v4
	s_delay_alu instid0(VALU_DEP_1)
	v_add_co_ci_u32_e64 v1, s0, v1, v5, s0
	s_or_b32 s76, vcc_lo, s76
	global_store_b16 v[0:1], v6, off
	s_and_not1_b32 exec_lo, exec_lo, s76
	s_cbranch_execz .LBB28_60
.LBB28_3:                               ; =>This Loop Header: Depth=1
                                        ;     Child Loop BB28_6 Depth 2
	v_sub_nc_u32_e32 v0, 0, v2
	v_mov_b32_e32 v74, 0
	s_mov_b32 s92, exec_lo
	s_delay_alu instid0(VALU_DEP_2) | instskip(NEXT) | instid1(VALU_DEP_1)
	v_max_i32_e32 v0, v2, v0
	v_mul_hi_u32 v1, v0, v60
	s_delay_alu instid0(VALU_DEP_1) | instskip(NEXT) | instid1(VALU_DEP_1)
	v_mul_lo_u32 v4, v1, s79
	v_sub_nc_u32_e32 v0, v0, v4
	v_add_nc_u32_e32 v4, 1, v1
	s_delay_alu instid0(VALU_DEP_2) | instskip(SKIP_1) | instid1(VALU_DEP_2)
	v_subrev_nc_u32_e32 v5, s79, v0
	v_cmp_le_u32_e32 vcc_lo, s79, v0
	v_dual_cndmask_b32 v1, v1, v4 :: v_dual_cndmask_b32 v0, v0, v5
	v_ashrrev_i32_e32 v4, 31, v2
	s_delay_alu instid0(VALU_DEP_2) | instskip(NEXT) | instid1(VALU_DEP_3)
	v_add_nc_u32_e32 v5, 1, v1
	v_cmp_le_u32_e32 vcc_lo, s79, v0
	s_delay_alu instid0(VALU_DEP_3) | instskip(NEXT) | instid1(VALU_DEP_3)
	v_xor_b32_e32 v4, s78, v4
	v_cndmask_b32_e32 v0, v1, v5, vcc_lo
	s_delay_alu instid0(VALU_DEP_1) | instskip(NEXT) | instid1(VALU_DEP_1)
	v_xor_b32_e32 v0, v0, v4
	v_sub_nc_u32_e32 v1, v0, v4
	s_delay_alu instid0(VALU_DEP_1) | instskip(NEXT) | instid1(VALU_DEP_1)
	v_sub_nc_u32_e32 v0, 0, v1
	v_max_i32_e32 v0, v1, v0
	s_delay_alu instid0(VALU_DEP_1) | instskip(NEXT) | instid1(VALU_DEP_1)
	v_mul_hi_u32 v4, v0, v61
	v_mul_lo_u32 v5, v4, s80
	s_delay_alu instid0(VALU_DEP_1) | instskip(SKIP_1) | instid1(VALU_DEP_2)
	v_sub_nc_u32_e32 v0, v0, v5
	v_add_nc_u32_e32 v5, 1, v4
	v_subrev_nc_u32_e32 v6, s80, v0
	v_cmp_le_u32_e32 vcc_lo, s80, v0
	s_delay_alu instid0(VALU_DEP_3) | instskip(NEXT) | instid1(VALU_DEP_3)
	v_cndmask_b32_e32 v4, v4, v5, vcc_lo
	v_cndmask_b32_e32 v0, v0, v6, vcc_lo
	v_ashrrev_i32_e32 v5, 31, v1
	s_delay_alu instid0(VALU_DEP_3) | instskip(NEXT) | instid1(VALU_DEP_3)
	v_add_nc_u32_e32 v6, 1, v4
	v_cmp_le_u32_e32 vcc_lo, s80, v0
	s_delay_alu instid0(VALU_DEP_3) | instskip(NEXT) | instid1(VALU_DEP_3)
	v_xor_b32_e32 v5, s86, v5
	v_cndmask_b32_e32 v0, v4, v6, vcc_lo
	s_delay_alu instid0(VALU_DEP_1) | instskip(NEXT) | instid1(VALU_DEP_1)
	v_xor_b32_e32 v0, v0, v5
	v_sub_nc_u32_e32 v4, v0, v5
	s_delay_alu instid0(VALU_DEP_1) | instskip(NEXT) | instid1(VALU_DEP_1)
	v_sub_nc_u32_e32 v0, 0, v4
	v_max_i32_e32 v0, v4, v0
	s_delay_alu instid0(VALU_DEP_1) | instskip(NEXT) | instid1(VALU_DEP_1)
	v_mul_hi_u32 v5, v0, v62
	v_mul_lo_u32 v6, v5, s81
	s_delay_alu instid0(VALU_DEP_1) | instskip(SKIP_1) | instid1(VALU_DEP_2)
	v_sub_nc_u32_e32 v0, v0, v6
	v_add_nc_u32_e32 v6, 1, v5
	v_subrev_nc_u32_e32 v7, s81, v0
	v_cmp_le_u32_e32 vcc_lo, s81, v0
	s_delay_alu instid0(VALU_DEP_2) | instskip(SKIP_1) | instid1(VALU_DEP_2)
	v_dual_cndmask_b32 v5, v5, v6 :: v_dual_cndmask_b32 v0, v0, v7
	v_ashrrev_i32_e32 v6, 31, v4
	v_add_nc_u32_e32 v7, 1, v5
	s_delay_alu instid0(VALU_DEP_3) | instskip(NEXT) | instid1(VALU_DEP_3)
	v_cmp_le_u32_e32 vcc_lo, s81, v0
	v_xor_b32_e32 v6, s87, v6
	s_delay_alu instid0(VALU_DEP_3) | instskip(NEXT) | instid1(VALU_DEP_1)
	v_cndmask_b32_e32 v0, v5, v7, vcc_lo
	v_xor_b32_e32 v0, v0, v6
	s_delay_alu instid0(VALU_DEP_1) | instskip(NEXT) | instid1(VALU_DEP_1)
	v_sub_nc_u32_e32 v5, v0, v6
	v_sub_nc_u32_e32 v0, 0, v5
	s_delay_alu instid0(VALU_DEP_1) | instskip(NEXT) | instid1(VALU_DEP_1)
	v_max_i32_e32 v0, v5, v0
	v_mul_hi_u32 v6, v0, v63
	s_delay_alu instid0(VALU_DEP_1) | instskip(NEXT) | instid1(VALU_DEP_1)
	v_mul_lo_u32 v7, v6, s74
	v_sub_nc_u32_e32 v0, v0, v7
	v_add_nc_u32_e32 v7, 1, v6
	s_delay_alu instid0(VALU_DEP_2) | instskip(SKIP_1) | instid1(VALU_DEP_3)
	v_subrev_nc_u32_e32 v8, s74, v0
	v_cmp_le_u32_e32 vcc_lo, s74, v0
	v_cndmask_b32_e32 v6, v6, v7, vcc_lo
	s_delay_alu instid0(VALU_DEP_3) | instskip(SKIP_1) | instid1(VALU_DEP_3)
	v_cndmask_b32_e32 v0, v0, v8, vcc_lo
	v_ashrrev_i32_e32 v7, 31, v5
	v_add_nc_u32_e32 v8, 1, v6
	s_delay_alu instid0(VALU_DEP_3) | instskip(NEXT) | instid1(VALU_DEP_3)
	v_cmp_le_u32_e32 vcc_lo, s74, v0
	v_xor_b32_e32 v7, s75, v7
	s_delay_alu instid0(VALU_DEP_3) | instskip(SKIP_1) | instid1(VALU_DEP_2)
	v_cndmask_b32_e32 v0, v6, v8, vcc_lo
	v_mul_lo_u32 v6, v1, s60
	v_xor_b32_e32 v0, v0, v7
	s_delay_alu instid0(VALU_DEP_2) | instskip(NEXT) | instid1(VALU_DEP_2)
	v_sub_nc_u32_e32 v67, v2, v6
	v_sub_nc_u32_e32 v71, v0, v7
	v_mul_lo_u32 v7, v4, s47
	s_delay_alu instid0(VALU_DEP_2) | instskip(NEXT) | instid1(VALU_DEP_2)
	v_mul_lo_u32 v0, v71, s45
	v_sub_nc_u32_e32 v68, v1, v7
	s_delay_alu instid0(VALU_DEP_2) | instskip(SKIP_1) | instid1(VALU_DEP_2)
	v_sub_nc_u32_e32 v69, v5, v0
	v_mul_lo_u32 v5, v5, s46
	v_mul_lo_u32 v0, v69, s85
	s_delay_alu instid0(VALU_DEP_2) | instskip(NEXT) | instid1(VALU_DEP_2)
	v_sub_nc_u32_e32 v70, v4, v5
	v_add_nc_u32_e32 v8, s85, v0
	s_delay_alu instid0(VALU_DEP_1)
	v_cmpx_lt_i32_e64 v0, v8
	s_cbranch_execz .LBB28_2
; %bb.4:                                ;   in Loop: Header=BB28_3 Depth=1
	v_readlane_b32 s0, v130, 0
	v_readlane_b32 s1, v130, 1
	s_delay_alu instid0(VALU_DEP_2) | instskip(NEXT) | instid1(VALU_DEP_2)
	v_add_nc_u32_e32 v14, s0, v68
	v_add_nc_u32_e32 v7, s1, v67
	v_readlane_b32 s1, v130, 2
	s_delay_alu instid0(VALU_DEP_2) | instskip(SKIP_1) | instid1(VALU_DEP_3)
	v_add_nc_u32_e32 v5, -1, v7
	v_sub_nc_u32_e32 v1, 1, v7
	v_mul_lo_u32 v0, s1, v0
	s_delay_alu instid0(VALU_DEP_2) | instskip(NEXT) | instid1(VALU_DEP_1)
	v_max_i32_e32 v1, v5, v1
	v_mul_hi_u32 v4, v1, v66
	s_delay_alu instid0(VALU_DEP_1) | instskip(NEXT) | instid1(VALU_DEP_1)
	v_mul_lo_u32 v6, v4, s84
	v_sub_nc_u32_e32 v1, v1, v6
	v_add_nc_u32_e32 v6, 1, v4
	s_delay_alu instid0(VALU_DEP_2) | instskip(SKIP_1) | instid1(VALU_DEP_2)
	v_subrev_nc_u32_e32 v8, s84, v1
	v_cmp_le_u32_e32 vcc_lo, s84, v1
	v_dual_cndmask_b32 v4, v4, v6 :: v_dual_cndmask_b32 v1, v1, v8
	v_sub_nc_u32_e32 v9, 0, v7
	v_sub_nc_u32_e32 v10, 2, v7
	s_delay_alu instid0(VALU_DEP_3) | instskip(NEXT) | instid1(VALU_DEP_4)
	v_add_nc_u32_e32 v8, 1, v4
	v_cmp_le_u32_e32 vcc_lo, s84, v1
	v_ashrrev_i32_e32 v1, 31, v0
	v_max_i32_e32 v9, v7, v9
	s_delay_alu instid0(VALU_DEP_4) | instskip(SKIP_4) | instid1(VALU_DEP_4)
	v_cndmask_b32_e32 v4, v4, v8, vcc_lo
	v_add_nc_u32_e32 v8, -2, v7
	v_ashrrev_i32_e32 v6, 31, v5
	v_lshlrev_b64 v[0:1], 1, v[0:1]
	v_mul_hi_u32 v11, v9, v66
	v_max_i32_e32 v10, v8, v10
	s_delay_alu instid0(VALU_DEP_4) | instskip(NEXT) | instid1(VALU_DEP_4)
	v_xor_b32_e32 v6, s90, v6
	v_add_co_u32 v0, vcc_lo, s72, v0
	s_delay_alu instid0(VALU_DEP_3) | instskip(NEXT) | instid1(VALU_DEP_3)
	v_mul_hi_u32 v12, v10, v66
	v_xor_b32_e32 v4, v4, v6
	v_add_co_ci_u32_e32 v1, vcc_lo, s73, v1, vcc_lo
	v_mul_lo_u32 v13, v11, s84
	s_delay_alu instid0(VALU_DEP_3) | instskip(NEXT) | instid1(VALU_DEP_1)
	v_sub_nc_u32_e32 v4, v4, v6
	v_mul_lo_u32 v6, v4, s54
	v_cmp_gt_i32_e64 s43, s51, v4
	s_delay_alu instid0(VALU_DEP_2) | instskip(SKIP_3) | instid1(VALU_DEP_2)
	v_cmp_eq_u32_e32 vcc_lo, v6, v5
	v_mul_lo_u32 v5, v12, s84
	v_sub_nc_u32_e32 v6, v9, v13
	v_add_nc_u32_e32 v9, -1, v14
	v_cmp_le_u32_e64 s0, s84, v6
	s_delay_alu instid0(VALU_DEP_4) | instskip(SKIP_1) | instid1(VALU_DEP_1)
	v_sub_nc_u32_e32 v5, v10, v5
	v_sub_nc_u32_e32 v10, 1, v14
	v_max_i32_e32 v10, v9, v10
	s_delay_alu instid0(VALU_DEP_1) | instskip(NEXT) | instid1(VALU_DEP_1)
	v_mul_hi_u32 v13, v10, v65
	v_mul_lo_u32 v15, v13, s83
	s_delay_alu instid0(VALU_DEP_1) | instskip(SKIP_1) | instid1(VALU_DEP_1)
	v_sub_nc_u32_e32 v10, v10, v15
	v_subrev_nc_u32_e32 v15, s84, v6
	v_cndmask_b32_e64 v6, v6, v15, s0
	v_add_nc_u32_e32 v15, 1, v11
	s_delay_alu instid0(VALU_DEP_1) | instskip(SKIP_2) | instid1(VALU_DEP_1)
	v_cndmask_b32_e64 v11, v11, v15, s0
	v_subrev_nc_u32_e32 v15, s84, v5
	v_cmp_le_u32_e64 s0, s84, v5
	v_cndmask_b32_e64 v5, v5, v15, s0
	v_add_nc_u32_e32 v15, 1, v12
	s_delay_alu instid0(VALU_DEP_1) | instskip(SKIP_2) | instid1(VALU_DEP_1)
	v_cndmask_b32_e64 v12, v12, v15, s0
	v_subrev_nc_u32_e32 v15, s83, v10
	v_cmp_le_u32_e64 s0, s83, v10
	v_cndmask_b32_e64 v10, v10, v15, s0
	v_add_nc_u32_e32 v15, 1, v13
	s_delay_alu instid0(VALU_DEP_1) | instskip(SKIP_2) | instid1(VALU_DEP_1)
	v_cndmask_b32_e64 v13, v13, v15, s0
	v_add_nc_u32_e32 v15, 1, v11
	v_cmp_le_u32_e64 s0, s84, v6
	v_cndmask_b32_e64 v6, v11, v15, s0
	v_add_nc_u32_e32 v11, 1, v12
	v_cmp_le_u32_e64 s0, s84, v5
	s_delay_alu instid0(VALU_DEP_1) | instskip(SKIP_4) | instid1(VALU_DEP_4)
	v_cndmask_b32_e64 v5, v12, v11, s0
	v_ashrrev_i32_e32 v11, 31, v7
	v_cmp_le_u32_e64 s0, s83, v10
	v_sub_nc_u32_e32 v10, 0, v14
	v_ashrrev_i32_e32 v12, 31, v9
	v_xor_b32_e32 v11, s90, v11
	s_delay_alu instid0(VALU_DEP_3) | instskip(NEXT) | instid1(VALU_DEP_3)
	v_max_i32_e32 v10, v14, v10
	v_xor_b32_e32 v12, s89, v12
	s_delay_alu instid0(VALU_DEP_3) | instskip(NEXT) | instid1(VALU_DEP_1)
	v_xor_b32_e32 v6, v6, v11
	v_sub_nc_u32_e32 v6, v6, v11
	v_ashrrev_i32_e32 v11, 31, v8
	s_delay_alu instid0(VALU_DEP_2) | instskip(NEXT) | instid1(VALU_DEP_2)
	v_cmp_gt_i32_e64 s42, s51, v6
	v_xor_b32_e32 v11, s90, v11
	s_delay_alu instid0(VALU_DEP_1) | instskip(NEXT) | instid1(VALU_DEP_1)
	v_xor_b32_e32 v5, v5, v11
	v_sub_nc_u32_e32 v5, v5, v11
	v_mul_lo_u32 v11, v6, s54
	s_delay_alu instid0(VALU_DEP_2) | instskip(NEXT) | instid1(VALU_DEP_2)
	v_cmp_gt_i32_e64 s44, s51, v5
	v_cmp_eq_u32_e64 s11, v11, v7
	v_mul_lo_u32 v11, v5, s54
	v_add_nc_u32_e32 v7, 1, v13
	s_delay_alu instid0(VALU_DEP_1) | instskip(NEXT) | instid1(VALU_DEP_3)
	v_cndmask_b32_e64 v7, v13, v7, s0
	v_cmp_eq_u32_e64 s7, v11, v8
	v_mul_hi_u32 v8, v10, v65
	s_delay_alu instid0(VALU_DEP_3) | instskip(NEXT) | instid1(VALU_DEP_1)
	v_xor_b32_e32 v7, v7, v12
	v_sub_nc_u32_e32 v7, v7, v12
	s_delay_alu instid0(VALU_DEP_3) | instskip(NEXT) | instid1(VALU_DEP_2)
	v_mul_lo_u32 v11, v8, s83
	v_mul_lo_u32 v12, v7, s53
	v_cmp_gt_i32_e64 s34, s50, v7
	s_delay_alu instid0(VALU_DEP_3) | instskip(SKIP_1) | instid1(VALU_DEP_4)
	v_sub_nc_u32_e32 v10, v10, v11
	v_add_nc_u32_e32 v11, -2, v14
	v_cmp_eq_u32_e64 s21, v12, v9
	s_delay_alu instid0(VALU_DEP_3) | instskip(SKIP_2) | instid1(VALU_DEP_2)
	v_subrev_nc_u32_e32 v9, s83, v10
	v_sub_nc_u32_e32 v12, 2, v14
	v_cmp_le_u32_e64 s0, s83, v10
	v_max_i32_e32 v12, v11, v12
	s_delay_alu instid0(VALU_DEP_2) | instskip(SKIP_1) | instid1(VALU_DEP_1)
	v_cndmask_b32_e64 v9, v10, v9, s0
	v_add_nc_u32_e32 v10, 1, v8
	v_cndmask_b32_e64 v8, v8, v10, s0
	s_delay_alu instid0(VALU_DEP_4) | instskip(NEXT) | instid1(VALU_DEP_4)
	v_mul_hi_u32 v10, v12, v65
	v_cmp_le_u32_e64 s0, s83, v9
	s_delay_alu instid0(VALU_DEP_2) | instskip(NEXT) | instid1(VALU_DEP_1)
	v_mul_lo_u32 v13, v10, s83
	v_sub_nc_u32_e32 v12, v12, v13
	v_add_nc_u32_e32 v13, 1, v8
	s_delay_alu instid0(VALU_DEP_2) | instskip(NEXT) | instid1(VALU_DEP_2)
	v_subrev_nc_u32_e32 v9, s83, v12
	v_cndmask_b32_e64 v8, v8, v13, s0
	v_cmp_le_u32_e64 s0, s83, v12
	s_delay_alu instid0(VALU_DEP_1) | instskip(SKIP_1) | instid1(VALU_DEP_1)
	v_cndmask_b32_e64 v12, v12, v9, s0
	v_add_nc_u32_e32 v9, 1, v10
	v_cndmask_b32_e64 v10, v10, v9, s0
	v_ashrrev_i32_e32 v9, 31, v14
	s_delay_alu instid0(VALU_DEP_4) | instskip(SKIP_1) | instid1(VALU_DEP_3)
	v_cmp_le_u32_e64 s0, s83, v12
	v_ashrrev_i32_e32 v12, 31, v11
	v_xor_b32_e32 v9, s89, v9
	s_delay_alu instid0(VALU_DEP_1) | instskip(NEXT) | instid1(VALU_DEP_1)
	v_xor_b32_e32 v8, v8, v9
	v_sub_nc_u32_e32 v9, v8, v9
	v_add_nc_u32_e32 v8, 1, v10
	s_delay_alu instid0(VALU_DEP_2) | instskip(NEXT) | instid1(VALU_DEP_2)
	v_cmp_gt_i32_e64 s37, s50, v9
	v_cndmask_b32_e64 v8, v10, v8, s0
	v_xor_b32_e32 v10, s89, v12
	v_mul_lo_u32 v12, v9, s53
	s_delay_alu instid0(VALU_DEP_4) | instskip(SKIP_1) | instid1(VALU_DEP_2)
	s_and_b32 s91, s43, s37
	s_and_b32 s66, s44, s37
	v_xor_b32_e32 v8, v8, v10
	s_and_b32 s65, s42, s37
	s_delay_alu instid0(VALU_DEP_2) | instskip(NEXT) | instid1(VALU_DEP_2)
	v_cmp_eq_u32_e64 s20, v12, v14
	v_sub_nc_u32_e32 v8, v8, v10
	v_add_nc_u32_e32 v12, s55, v70
	s_delay_alu instid0(VALU_DEP_2) | instskip(NEXT) | instid1(VALU_DEP_2)
	v_mul_lo_u32 v10, v8, s53
	v_add_nc_u32_e32 v13, -1, v12
	v_cmp_gt_i32_e64 s29, s50, v8
	s_delay_alu instid0(VALU_DEP_3) | instskip(NEXT) | instid1(VALU_DEP_3)
	v_cmp_eq_u32_e64 s26, v10, v11
	v_sub_nc_u32_e32 v10, 0, v13
	s_delay_alu instid0(VALU_DEP_1) | instskip(NEXT) | instid1(VALU_DEP_1)
	v_max_i32_e32 v10, v13, v10
	v_mul_hi_u32 v11, v10, v64
	s_delay_alu instid0(VALU_DEP_1) | instskip(NEXT) | instid1(VALU_DEP_1)
	v_mul_lo_u32 v14, v11, s82
	v_sub_nc_u32_e32 v10, v10, v14
	s_delay_alu instid0(VALU_DEP_1) | instskip(SKIP_1) | instid1(VALU_DEP_1)
	v_subrev_nc_u32_e32 v14, s82, v10
	v_cmp_le_u32_e64 s0, s82, v10
	v_cndmask_b32_e64 v10, v10, v14, s0
	v_add_nc_u32_e32 v14, 1, v11
	s_delay_alu instid0(VALU_DEP_1) | instskip(NEXT) | instid1(VALU_DEP_3)
	v_cndmask_b32_e64 v11, v11, v14, s0
	v_cmp_le_u32_e64 s0, s82, v10
	s_delay_alu instid0(VALU_DEP_2) | instskip(NEXT) | instid1(VALU_DEP_1)
	v_add_nc_u32_e32 v14, 1, v11
	v_cndmask_b32_e64 v10, v11, v14, s0
	v_ashrrev_i32_e32 v11, 31, v13
	s_delay_alu instid0(VALU_DEP_1) | instskip(NEXT) | instid1(VALU_DEP_1)
	v_xor_b32_e32 v11, s88, v11
	v_xor_b32_e32 v10, v10, v11
	s_delay_alu instid0(VALU_DEP_1) | instskip(NEXT) | instid1(VALU_DEP_1)
	v_sub_nc_u32_e32 v10, v10, v11
	v_mul_lo_u32 v11, v10, s52
	v_cmp_gt_i32_e64 s38, s49, v10
	s_delay_alu instid0(VALU_DEP_2) | instskip(SKIP_1) | instid1(VALU_DEP_1)
	v_cmp_eq_u32_e64 s17, v11, v13
	v_sub_nc_u32_e32 v11, 0, v12
	v_max_i32_e32 v11, v12, v11
	s_delay_alu instid0(VALU_DEP_1) | instskip(NEXT) | instid1(VALU_DEP_1)
	v_mul_hi_u32 v13, v11, v64
	v_mul_lo_u32 v14, v13, s82
	s_delay_alu instid0(VALU_DEP_1) | instskip(NEXT) | instid1(VALU_DEP_1)
	v_sub_nc_u32_e32 v11, v11, v14
	v_subrev_nc_u32_e32 v14, s82, v11
	v_cmp_le_u32_e64 s0, s82, v11
	s_delay_alu instid0(VALU_DEP_1) | instskip(SKIP_1) | instid1(VALU_DEP_1)
	v_cndmask_b32_e64 v11, v11, v14, s0
	v_add_nc_u32_e32 v14, 1, v13
	v_cndmask_b32_e64 v13, v13, v14, s0
	s_delay_alu instid0(VALU_DEP_3) | instskip(NEXT) | instid1(VALU_DEP_2)
	v_cmp_le_u32_e64 s0, s82, v11
	v_add_nc_u32_e32 v14, 1, v13
	s_delay_alu instid0(VALU_DEP_1) | instskip(SKIP_1) | instid1(VALU_DEP_1)
	v_cndmask_b32_e64 v11, v13, v14, s0
	v_ashrrev_i32_e32 v13, 31, v12
	v_xor_b32_e32 v13, s88, v13
	s_delay_alu instid0(VALU_DEP_1) | instskip(NEXT) | instid1(VALU_DEP_1)
	v_xor_b32_e32 v11, v11, v13
	v_sub_nc_u32_e32 v13, v11, v13
	s_delay_alu instid0(VALU_DEP_1) | instskip(SKIP_1) | instid1(VALU_DEP_2)
	v_mul_lo_u32 v11, v13, s52
	v_cmp_gt_i32_e64 s36, s49, v13
	v_cmp_eq_u32_e64 s6, v11, v12
	v_add_nc_u32_e32 v11, -2, v12
	s_delay_alu instid0(VALU_DEP_2) | instskip(NEXT) | instid1(VALU_DEP_1)
	s_and_b32 s64, s6, s20
	v_sub_nc_u32_e32 v12, 0, v11
	s_delay_alu instid0(VALU_DEP_1) | instskip(NEXT) | instid1(VALU_DEP_1)
	v_max_i32_e32 v12, v11, v12
	v_mul_hi_u32 v14, v12, v64
	s_delay_alu instid0(VALU_DEP_1) | instskip(NEXT) | instid1(VALU_DEP_1)
	v_mul_lo_u32 v15, v14, s82
	v_sub_nc_u32_e32 v12, v12, v15
	s_delay_alu instid0(VALU_DEP_1) | instskip(SKIP_1) | instid1(VALU_DEP_1)
	v_subrev_nc_u32_e32 v15, s82, v12
	v_cmp_le_u32_e64 s0, s82, v12
	v_cndmask_b32_e64 v12, v12, v15, s0
	v_add_nc_u32_e32 v15, 1, v14
	s_delay_alu instid0(VALU_DEP_1) | instskip(NEXT) | instid1(VALU_DEP_3)
	v_cndmask_b32_e64 v14, v14, v15, s0
	v_cmp_le_u32_e64 s0, s82, v12
	s_delay_alu instid0(VALU_DEP_2) | instskip(NEXT) | instid1(VALU_DEP_1)
	v_add_nc_u32_e32 v15, 1, v14
	v_cndmask_b32_e64 v12, v14, v15, s0
	v_ashrrev_i32_e32 v14, 31, v11
	v_readlane_b32 s0, v130, 3
	v_readlane_b32 s1, v130, 4
	s_delay_alu instid0(VALU_DEP_3) | instskip(NEXT) | instid1(VALU_DEP_1)
	v_xor_b32_e32 v14, s88, v14
	v_xor_b32_e32 v12, v12, v14
	s_delay_alu instid0(VALU_DEP_1) | instskip(NEXT) | instid1(VALU_DEP_1)
	v_sub_nc_u32_e32 v14, v12, v14
	v_mul_lo_u32 v12, v14, s52
	v_cmp_gt_i32_e64 s28, s49, v14
	s_delay_alu instid0(VALU_DEP_2) | instskip(SKIP_1) | instid1(VALU_DEP_1)
	v_cmp_eq_u32_e64 s27, v12, v11
	v_mul_lo_u32 v11, s68, v71
	v_ashrrev_i32_e32 v12, 31, v11
	s_delay_alu instid0(VALU_DEP_1) | instskip(NEXT) | instid1(VALU_DEP_1)
	v_lshlrev_b64 v[11:12], 1, v[11:12]
	v_add_co_u32 v72, s0, s0, v11
	v_or_b32_e32 v11, v6, v9
	s_delay_alu instid0(VALU_DEP_3) | instskip(NEXT) | instid1(VALU_DEP_2)
	v_add_co_ci_u32_e64 v73, s0, s1, v12, s0
	v_or_b32_e32 v12, v11, v13
	s_delay_alu instid0(VALU_DEP_1) | instskip(SKIP_1) | instid1(VALU_DEP_2)
	v_cmp_lt_i32_e64 s0, -1, v12
	v_or_b32_e32 v12, v4, v9
	s_and_b32 s0, s42, s0
	s_delay_alu instid0(VALU_DEP_1) | instskip(SKIP_1) | instid1(SALU_CYCLE_1)
	v_or_b32_e32 v15, v12, v13
	s_and_b32 s0, s0, s37
	s_and_b32 s93, s0, s36
	s_delay_alu instid0(VALU_DEP_1) | instskip(SKIP_1) | instid1(VALU_DEP_2)
	v_cmp_lt_i32_e64 s1, -1, v15
	v_or_b32_e32 v15, v5, v9
	s_and_b32 s0, s43, s1
	s_delay_alu instid0(VALU_DEP_1) | instskip(SKIP_3) | instid1(VALU_DEP_1)
	v_or_b32_e32 v16, v15, v13
	s_and_b32 s1, s0, s37
	s_and_b32 s0, s64, s11
	;; [unrolled: 1-line block ×3, first 2 shown]
	v_cmp_lt_i32_e64 s2, -1, v16
	v_or_b32_e32 v16, v6, v7
	s_delay_alu instid0(VALU_DEP_2) | instskip(NEXT) | instid1(VALU_DEP_1)
	s_and_b32 s1, s44, s2
	v_or_b32_e32 v17, v16, v13
	s_and_b32 s2, s1, s37
	s_and_b32 s1, s64, vcc_lo
	s_and_b32 s95, s2, s36
	s_and_b32 s2, s64, s7
	v_cmp_lt_i32_e64 s3, -1, v17
	v_or_b32_e32 v17, v4, v7
	s_and_b32 s64, s6, s21
	s_delay_alu instid0(VALU_DEP_2) | instskip(NEXT) | instid1(VALU_DEP_1)
	s_and_b32 s3, s42, s3
	v_or_b32_e32 v18, v17, v13
	s_and_b32 s3, s3, s34
	s_delay_alu instid0(SALU_CYCLE_1) | instskip(NEXT) | instid1(VALU_DEP_1)
	s_and_b32 s96, s3, s36
	v_cmp_lt_i32_e64 s4, -1, v18
	v_or_b32_e32 v18, v5, v7
	s_delay_alu instid0(VALU_DEP_2) | instskip(NEXT) | instid1(VALU_DEP_1)
	s_and_b32 s3, s43, s4
	v_or_b32_e32 v19, v18, v13
	s_and_b32 s4, s3, s34
	s_and_b32 s3, s64, s11
	;; [unrolled: 1-line block ×3, first 2 shown]
	s_delay_alu instid0(VALU_DEP_1) | instskip(SKIP_1) | instid1(VALU_DEP_2)
	v_cmp_lt_i32_e64 s5, -1, v19
	v_or_b32_e32 v19, v6, v8
	s_and_b32 s4, s44, s5
	s_delay_alu instid0(VALU_DEP_1)
	v_or_b32_e32 v20, v19, v13
	s_and_b32 s5, s4, s34
	s_and_b32 s4, s64, vcc_lo
	s_and_b32 s98, s5, s36
	s_and_b32 s5, s64, s7
	v_cmp_lt_i32_e64 s8, -1, v20
	v_or_b32_e32 v20, v4, v8
	s_and_b32 s64, s6, s26
	s_delay_alu instid0(VALU_DEP_2) | instskip(NEXT) | instid1(VALU_DEP_1)
	s_and_b32 s8, s42, s8
	v_or_b32_e32 v21, v20, v13
	s_and_b32 s8, s8, s29
	s_delay_alu instid0(SALU_CYCLE_1) | instskip(NEXT) | instid1(VALU_DEP_1)
	s_and_b32 s99, s8, s36
	v_cmp_lt_i32_e64 s9, -1, v21
	v_or_b32_e32 v21, v5, v8
	s_delay_alu instid0(VALU_DEP_2) | instskip(NEXT) | instid1(VALU_DEP_1)
	s_and_b32 s6, s43, s9
	v_or_b32_e32 v22, v21, v13
	s_and_b32 s8, s6, s29
	s_and_b32 s6, s64, s11
	;; [unrolled: 1-line block ×3, first 2 shown]
	s_delay_alu instid0(VALU_DEP_1) | instskip(SKIP_2) | instid1(VALU_DEP_3)
	v_cmp_lt_i32_e64 s35, -1, v22
	v_or_b32_e32 v22, v11, v10
	v_or_b32_e32 v11, v11, v14
	s_and_b32 s8, s44, s35
	s_delay_alu instid0(VALU_DEP_2) | instskip(SKIP_1) | instid1(VALU_DEP_3)
	v_cmp_lt_i32_e64 s31, -1, v22
	v_or_b32_e32 v22, v12, v10
	v_cmp_lt_i32_e64 s22, -1, v11
	v_or_b32_e32 v11, v12, v14
	v_or_b32_e32 v12, v19, v14
	s_and_b32 s9, s8, s29
	v_cmp_lt_i32_e64 s10, -1, v22
	v_or_b32_e32 v22, v15, v10
	v_cmp_lt_i32_e64 s23, -1, v11
	v_or_b32_e32 v11, v15, v14
	v_or_b32_e32 v15, v21, v14
	s_and_b32 s8, s64, vcc_lo
	v_cmp_lt_i32_e64 s12, -1, v22
	v_or_b32_e32 v22, v16, v10
	v_cmp_lt_i32_e64 s24, -1, v11
	v_or_b32_e32 v11, v16, v14
	s_and_b32 s35, s9, s36
	s_and_b32 s9, s64, s7
	v_cmp_lt_i32_e64 s13, -1, v22
	v_or_b32_e32 v22, v17, v10
	v_cmp_lt_i32_e64 s25, -1, v11
	v_or_b32_e32 v11, v17, v14
	s_and_b32 s64, s17, s20
	s_and_b32 s67, s42, s13
	;; [unrolled: 6-line block ×3, first 2 shown]
	v_cmp_lt_i32_e64 s15, -1, v22
	v_or_b32_e32 v22, v19, v10
	v_cmp_lt_i32_e64 s33, -1, v11
	v_mul_lo_u32 v11, v13, s50
	v_or_b32_e32 v13, v20, v14
	v_mul_lo_u32 v14, v14, s50
	v_cmp_lt_i32_e64 s16, -1, v22
	v_or_b32_e32 v22, v20, v10
	s_and_b32 s37, s66, s12
	s_and_b32 s12, s64, vcc_lo
	s_and_b32 s13, s64, s7
	v_add_nc_u32_e32 v16, v9, v11
	v_cmp_lt_i32_e64 s19, -1, v22
	v_or_b32_e32 v22, v21, v10
	v_mul_lo_u32 v10, v10, s50
	v_add_nc_u32_e32 v17, v7, v11
	v_add_nc_u32_e32 v18, v8, v11
	v_add_nc_u32_e32 v41, v9, v14
	v_add_nc_u32_e32 v47, v7, v14
	v_add_nc_u32_e32 v53, v8, v14
	v_mul_lo_u32 v11, v16, s51
	v_mul_lo_u32 v17, v17, s51
	v_add_nc_u32_e32 v23, v9, v10
	v_add_nc_u32_e32 v29, v7, v10
	;; [unrolled: 1-line block ×3, first 2 shown]
	v_mul_lo_u32 v24, v18, s51
	v_mul_lo_u32 v48, v41, s51
	;; [unrolled: 1-line block ×7, first 2 shown]
	s_and_b32 s64, s67, s34
	s_and_b32 s14, s43, s14
	;; [unrolled: 1-line block ×8, first 2 shown]
	v_cmp_lt_i32_e64 s18, -1, v22
	v_cmp_lt_i32_e64 s40, -1, v13
	;; [unrolled: 1-line block ×3, first 2 shown]
	v_add_nc_u32_e32 v7, v6, v11
	v_add_nc_u32_e32 v9, v4, v11
	;; [unrolled: 1-line block ×12, first 2 shown]
	s_and_b32 s67, s17, s21
	v_add_nc_u32_e32 v31, v6, v36
	v_add_nc_u32_e32 v33, v4, v36
	s_and_b32 s103, s64, s38
	v_add_nc_u32_e32 v35, v5, v36
	s_and_b32 s64, s42, s16
	v_add_nc_u32_e32 v37, v6, v42
	v_add_nc_u32_e32 v39, v4, v42
	;; [unrolled: 1-line block ×3, first 2 shown]
	s_and_b32 s77, s22, s28
	v_add_nc_u32_e32 v43, v6, v48
	s_and_b32 s22, s91, s23
	v_add_nc_u32_e32 v45, v4, v48
	;; [unrolled: 2-line block ×4, first 2 shown]
	v_add_nc_u32_e32 v51, v4, v54
	v_add_nc_u32_e32 v53, v5, v54
	;; [unrolled: 1-line block ×4, first 2 shown]
	s_and_b32 s31, s65, s31
	s_and_b32 s14, s67, s11
	s_and_b32 s15, s67, vcc_lo
	s_and_b32 s16, s67, s7
	s_and_b32 s64, s64, s29
	;; [unrolled: 1-line block ×8, first 2 shown]
	v_add_nc_u32_e32 v74, v5, v58
	v_cmp_lt_i32_e64 s39, -1, v12
	s_and_b32 s104, s64, s38
	s_and_b32 s19, s17, s29
	;; [unrolled: 1-line block ×5, first 2 shown]
	s_and_b32 s22, s65, vcc_lo
	s_and_b32 s64, s23, s28
	s_and_b32 s23, s65, s7
	;; [unrolled: 1-line block ×4, first 2 shown]
	v_ashrrev_i32_e32 v8, 31, v7
	v_ashrrev_i32_e32 v10, 31, v9
	;; [unrolled: 1-line block ×26, first 2 shown]
	s_and_b32 vcc_hi, s19, s38
	s_and_b32 s19, s18, s29
	s_and_b32 s30, s24, s28
	;; [unrolled: 1-line block ×4, first 2 shown]
	v_ashrrev_i32_e32 v75, 31, v74
	s_and_b32 s31, s31, s38
	s_and_b32 s36, s36, s38
	;; [unrolled: 1-line block ×4, first 2 shown]
	s_and_b32 s18, s67, vcc_lo
	s_and_b32 s38, s19, s38
	s_and_b32 s19, s67, s7
	;; [unrolled: 1-line block ×4, first 2 shown]
	s_and_b32 s24, s25, vcc_lo
	s_and_b32 s34, s42, s39
	s_and_b32 s25, s25, s7
	;; [unrolled: 1-line block ×3, first 2 shown]
	s_and_b32 vcc_lo, s26, vcc_lo
	s_and_b32 s7, s26, s7
	s_mul_i32 s26, s69, s85
	s_and_b32 s34, s34, s29
	v_lshlrev_b64 v[4:5], 1, v[7:8]
	v_lshlrev_b64 v[6:7], 1, v[9:10]
	;; [unrolled: 1-line block ×26, first 2 shown]
	v_mul_lo_u32 v58, s26, v69
	s_and_b32 s27, s34, s28
	s_and_b32 s34, s43, s40
	;; [unrolled: 1-line block ×3, first 2 shown]
	v_lshlrev_b64 v[56:57], 1, v[74:75]
	v_mov_b32_e32 v74, 0
	s_and_b32 s34, s34, s29
	s_and_b32 s29, s39, s29
	;; [unrolled: 1-line block ×5, first 2 shown]
	s_mov_b32 s29, s85
	s_branch .LBB28_6
.LBB28_5:                               ;   in Loop: Header=BB28_6 Depth=2
	s_or_b32 exec_lo, exec_lo, s39
	s_waitcnt vmcnt(26)
	v_lshlrev_b32_e32 v75, 16, v75
	v_add_co_u32 v0, s26, v0, 54
	s_delay_alu instid0(VALU_DEP_1) | instskip(NEXT) | instid1(VALU_DEP_3)
	v_add_co_ci_u32_e64 v1, s26, 0, v1, s26
	v_fma_f32 v59, v59, v75, v74
	s_waitcnt vmcnt(25)
	v_lshlrev_b32_e32 v75, 16, v78
	v_add_nc_u32_e32 v58, s69, v58
	s_add_i32 s29, s29, -1
	s_delay_alu instid0(SALU_CYCLE_1) | instskip(SKIP_1) | instid1(VALU_DEP_1)
	s_cmp_eq_u32 s29, 0
	v_cndmask_b32_e64 v59, v74, v59, s0
	v_fma_f32 v74, v80, v75, v59
	s_waitcnt vmcnt(24)
	v_lshlrev_b32_e32 v75, 16, v81
	s_delay_alu instid0(VALU_DEP_2) | instskip(NEXT) | instid1(VALU_DEP_1)
	v_cndmask_b32_e64 v59, v59, v74, s1
	v_fma_f32 v74, v79, v75, v59
	s_waitcnt vmcnt(23)
	v_lshlrev_b32_e32 v75, 16, v82
	s_delay_alu instid0(VALU_DEP_2) | instskip(NEXT) | instid1(VALU_DEP_1)
	;; [unrolled: 5-line block ×25, first 2 shown]
	v_cndmask_b32_e32 v59, v59, v74, vcc_lo
	v_fma_f32 v74, v127, v75, v59
	s_delay_alu instid0(VALU_DEP_1)
	v_cndmask_b32_e64 v74, v59, v74, s7
	s_cbranch_scc1 .LBB28_2
.LBB28_6:                               ;   Parent Loop BB28_3 Depth=1
                                        ; =>  This Inner Loop Header: Depth=2
	global_load_u16 v75, v[0:1], off
	v_ashrrev_i32_e32 v59, 31, v58
	s_delay_alu instid0(VALU_DEP_1) | instskip(SKIP_1) | instid1(VALU_DEP_2)
	v_lshlrev_b64 v[76:77], 1, v[58:59]
	v_mov_b32_e32 v59, 0
	v_add_co_u32 v76, s26, v72, v76
	s_delay_alu instid0(VALU_DEP_1)
	v_add_co_ci_u32_e64 v77, s26, v73, v77, s26
	s_and_saveexec_b32 s39, s93
	s_cbranch_execz .LBB28_8
; %bb.7:                                ;   in Loop: Header=BB28_6 Depth=2
	s_delay_alu instid0(VALU_DEP_2) | instskip(NEXT) | instid1(VALU_DEP_1)
	v_add_co_u32 v78, s26, v76, v4
	v_add_co_ci_u32_e64 v79, s26, v77, v5, s26
	global_load_u16 v59, v[78:79], off
	s_waitcnt vmcnt(0)
	v_lshlrev_b32_e32 v59, 16, v59
.LBB28_8:                               ;   in Loop: Header=BB28_6 Depth=2
	s_or_b32 exec_lo, exec_lo, s39
	global_load_u16 v78, v[0:1], off offset:2
	v_dual_mov_b32 v79, 0 :: v_dual_mov_b32 v80, 0
	s_and_saveexec_b32 s39, s94
	s_cbranch_execz .LBB28_10
; %bb.9:                                ;   in Loop: Header=BB28_6 Depth=2
	v_add_co_u32 v80, s26, v76, v6
	s_delay_alu instid0(VALU_DEP_1)
	v_add_co_ci_u32_e64 v81, s26, v77, v7, s26
	global_load_u16 v80, v[80:81], off
	s_waitcnt vmcnt(0)
	v_lshlrev_b32_e32 v80, 16, v80
.LBB28_10:                              ;   in Loop: Header=BB28_6 Depth=2
	s_or_b32 exec_lo, exec_lo, s39
	global_load_u16 v81, v[0:1], off offset:4
	s_and_saveexec_b32 s39, s95
	s_cbranch_execz .LBB28_12
; %bb.11:                               ;   in Loop: Header=BB28_6 Depth=2
	v_add_co_u32 v82, s26, v76, v8
	s_delay_alu instid0(VALU_DEP_1)
	v_add_co_ci_u32_e64 v83, s26, v77, v9, s26
	global_load_u16 v79, v[82:83], off
	s_waitcnt vmcnt(0)
	v_lshlrev_b32_e32 v79, 16, v79
.LBB28_12:                              ;   in Loop: Header=BB28_6 Depth=2
	s_or_b32 exec_lo, exec_lo, s39
	global_load_u16 v82, v[0:1], off offset:6
	v_dual_mov_b32 v83, 0 :: v_dual_mov_b32 v84, 0
	s_and_saveexec_b32 s39, s96
	s_cbranch_execz .LBB28_14
; %bb.13:                               ;   in Loop: Header=BB28_6 Depth=2
	v_add_co_u32 v84, s26, v76, v10
	s_delay_alu instid0(VALU_DEP_1)
	v_add_co_ci_u32_e64 v85, s26, v77, v11, s26
	global_load_u16 v84, v[84:85], off
	s_waitcnt vmcnt(0)
	v_lshlrev_b32_e32 v84, 16, v84
.LBB28_14:                              ;   in Loop: Header=BB28_6 Depth=2
	s_or_b32 exec_lo, exec_lo, s39
	global_load_u16 v85, v[0:1], off offset:8
	s_and_saveexec_b32 s39, s97
	s_cbranch_execz .LBB28_16
; %bb.15:                               ;   in Loop: Header=BB28_6 Depth=2
	v_add_co_u32 v86, s26, v76, v12
	s_delay_alu instid0(VALU_DEP_1)
	v_add_co_ci_u32_e64 v87, s26, v77, v13, s26
	global_load_u16 v83, v[86:87], off
	s_waitcnt vmcnt(0)
	v_lshlrev_b32_e32 v83, 16, v83
.LBB28_16:                              ;   in Loop: Header=BB28_6 Depth=2
	s_or_b32 exec_lo, exec_lo, s39
	global_load_u16 v86, v[0:1], off offset:10
	v_dual_mov_b32 v87, 0 :: v_dual_mov_b32 v88, 0
	s_and_saveexec_b32 s39, s98
	s_cbranch_execz .LBB28_18
; %bb.17:                               ;   in Loop: Header=BB28_6 Depth=2
	v_add_co_u32 v88, s26, v76, v14
	s_delay_alu instid0(VALU_DEP_1)
	v_add_co_ci_u32_e64 v89, s26, v77, v15, s26
	global_load_u16 v88, v[88:89], off
	s_waitcnt vmcnt(0)
	v_lshlrev_b32_e32 v88, 16, v88
.LBB28_18:                              ;   in Loop: Header=BB28_6 Depth=2
	;; [unrolled: 25-line block ×7, first 2 shown]
	s_or_b32 exec_lo, exec_lo, s39
	global_load_u16 v109, v[0:1], off offset:32
	s_and_saveexec_b32 s39, vcc_hi
	s_cbranch_execz .LBB28_40
; %bb.39:                               ;   in Loop: Header=BB28_6 Depth=2
	v_add_co_u32 v110, s26, v76, v36
	s_delay_alu instid0(VALU_DEP_1)
	v_add_co_ci_u32_e64 v111, s26, v77, v37, s26
	global_load_u16 v107, v[110:111], off
	s_waitcnt vmcnt(0)
	v_lshlrev_b32_e32 v107, 16, v107
.LBB28_40:                              ;   in Loop: Header=BB28_6 Depth=2
	s_or_b32 exec_lo, exec_lo, s39
	global_load_u16 v110, v[0:1], off offset:34
	v_dual_mov_b32 v111, 0 :: v_dual_mov_b32 v112, 0
	s_and_saveexec_b32 s39, s38
	s_cbranch_execz .LBB28_42
; %bb.41:                               ;   in Loop: Header=BB28_6 Depth=2
	v_add_co_u32 v112, s26, v76, v38
	s_delay_alu instid0(VALU_DEP_1)
	v_add_co_ci_u32_e64 v113, s26, v77, v39, s26
	global_load_u16 v112, v[112:113], off
	s_waitcnt vmcnt(0)
	v_lshlrev_b32_e32 v112, 16, v112
.LBB28_42:                              ;   in Loop: Header=BB28_6 Depth=2
	s_or_b32 exec_lo, exec_lo, s39
	global_load_u16 v113, v[0:1], off offset:36
	s_and_saveexec_b32 s39, s77
	s_cbranch_execz .LBB28_44
; %bb.43:                               ;   in Loop: Header=BB28_6 Depth=2
	v_add_co_u32 v114, s26, v76, v40
	s_delay_alu instid0(VALU_DEP_1)
	v_add_co_ci_u32_e64 v115, s26, v77, v41, s26
	global_load_u16 v111, v[114:115], off
	s_waitcnt vmcnt(0)
	v_lshlrev_b32_e32 v111, 16, v111
.LBB28_44:                              ;   in Loop: Header=BB28_6 Depth=2
	s_or_b32 exec_lo, exec_lo, s39
	global_load_u16 v114, v[0:1], off offset:38
	v_dual_mov_b32 v115, 0 :: v_dual_mov_b32 v116, 0
	s_and_saveexec_b32 s39, s91
	s_cbranch_execz .LBB28_46
; %bb.45:                               ;   in Loop: Header=BB28_6 Depth=2
	v_add_co_u32 v116, s26, v76, v42
	s_delay_alu instid0(VALU_DEP_1)
	v_add_co_ci_u32_e64 v117, s26, v77, v43, s26
	global_load_u16 v116, v[116:117], off
	s_waitcnt vmcnt(0)
	v_lshlrev_b32_e32 v116, 16, v116
.LBB28_46:                              ;   in Loop: Header=BB28_6 Depth=2
	s_or_b32 exec_lo, exec_lo, s39
	global_load_u16 v117, v[0:1], off offset:40
	s_and_saveexec_b32 s39, s64
	;; [unrolled: 25-line block ×5, first 2 shown]
	s_cbranch_execz .LBB28_5
; %bb.59:                               ;   in Loop: Header=BB28_6 Depth=2
	v_add_co_u32 v76, s26, v76, v56
	s_delay_alu instid0(VALU_DEP_1)
	v_add_co_ci_u32_e64 v77, s26, v77, v57, s26
	global_load_u16 v76, v[76:77], off
	s_waitcnt vmcnt(0)
	v_lshlrev_b32_e32 v127, 16, v76
	s_branch .LBB28_5
.LBB28_60:
	s_nop 0
	s_sendmsg sendmsg(MSG_DEALLOC_VGPRS)
	s_endpgm
	.section	.rodata,"a",@progbits
	.p2align	6, 0x0
	.amdhsa_kernel _ZN2at6native12_GLOBAL__N_143conv_depthwise3d_cuda_backward_input_kernelIN3c108BFloat16EfLi3ELi3ELi3ELi1ELi1ELi1ELin1ELin1ELin1EEEvN5torch10headeronly6detail27GenericPackedTensorAccessorINS7_14TensorAccessorINS3_8ArrayRefIlEEKT_Lm4ENS6_16DefaultPtrTraitsEiEENS_6detail16IndexBoundsCheckILm5EiEESD_Lm5ESE_iEENS8_INS9_ISB_SC_Lm4ESE_iEESI_SC_Lm5ESE_iEESJ_iiiiiiiii
		.amdhsa_group_segment_fixed_size 0
		.amdhsa_private_segment_fixed_size 0
		.amdhsa_kernarg_size 440
		.amdhsa_user_sgpr_count 15
		.amdhsa_user_sgpr_dispatch_ptr 0
		.amdhsa_user_sgpr_queue_ptr 0
		.amdhsa_user_sgpr_kernarg_segment_ptr 1
		.amdhsa_user_sgpr_dispatch_id 0
		.amdhsa_user_sgpr_private_segment_size 0
		.amdhsa_wavefront_size32 1
		.amdhsa_uses_dynamic_stack 0
		.amdhsa_enable_private_segment 0
		.amdhsa_system_sgpr_workgroup_id_x 1
		.amdhsa_system_sgpr_workgroup_id_y 0
		.amdhsa_system_sgpr_workgroup_id_z 0
		.amdhsa_system_sgpr_workgroup_info 0
		.amdhsa_system_vgpr_workitem_id 0
		.amdhsa_next_free_vgpr 131
		.amdhsa_next_free_sgpr 105
		.amdhsa_reserve_vcc 1
		.amdhsa_float_round_mode_32 0
		.amdhsa_float_round_mode_16_64 0
		.amdhsa_float_denorm_mode_32 3
		.amdhsa_float_denorm_mode_16_64 3
		.amdhsa_dx10_clamp 1
		.amdhsa_ieee_mode 1
		.amdhsa_fp16_overflow 0
		.amdhsa_workgroup_processor_mode 1
		.amdhsa_memory_ordered 1
		.amdhsa_forward_progress 0
		.amdhsa_shared_vgpr_count 0
		.amdhsa_exception_fp_ieee_invalid_op 0
		.amdhsa_exception_fp_denorm_src 0
		.amdhsa_exception_fp_ieee_div_zero 0
		.amdhsa_exception_fp_ieee_overflow 0
		.amdhsa_exception_fp_ieee_underflow 0
		.amdhsa_exception_fp_ieee_inexact 0
		.amdhsa_exception_int_div_zero 0
	.end_amdhsa_kernel
	.section	.text._ZN2at6native12_GLOBAL__N_143conv_depthwise3d_cuda_backward_input_kernelIN3c108BFloat16EfLi3ELi3ELi3ELi1ELi1ELi1ELin1ELin1ELin1EEEvN5torch10headeronly6detail27GenericPackedTensorAccessorINS7_14TensorAccessorINS3_8ArrayRefIlEEKT_Lm4ENS6_16DefaultPtrTraitsEiEENS_6detail16IndexBoundsCheckILm5EiEESD_Lm5ESE_iEENS8_INS9_ISB_SC_Lm4ESE_iEESI_SC_Lm5ESE_iEESJ_iiiiiiiii,"axG",@progbits,_ZN2at6native12_GLOBAL__N_143conv_depthwise3d_cuda_backward_input_kernelIN3c108BFloat16EfLi3ELi3ELi3ELi1ELi1ELi1ELin1ELin1ELin1EEEvN5torch10headeronly6detail27GenericPackedTensorAccessorINS7_14TensorAccessorINS3_8ArrayRefIlEEKT_Lm4ENS6_16DefaultPtrTraitsEiEENS_6detail16IndexBoundsCheckILm5EiEESD_Lm5ESE_iEENS8_INS9_ISB_SC_Lm4ESE_iEESI_SC_Lm5ESE_iEESJ_iiiiiiiii,comdat
.Lfunc_end28:
	.size	_ZN2at6native12_GLOBAL__N_143conv_depthwise3d_cuda_backward_input_kernelIN3c108BFloat16EfLi3ELi3ELi3ELi1ELi1ELi1ELin1ELin1ELin1EEEvN5torch10headeronly6detail27GenericPackedTensorAccessorINS7_14TensorAccessorINS3_8ArrayRefIlEEKT_Lm4ENS6_16DefaultPtrTraitsEiEENS_6detail16IndexBoundsCheckILm5EiEESD_Lm5ESE_iEENS8_INS9_ISB_SC_Lm4ESE_iEESI_SC_Lm5ESE_iEESJ_iiiiiiiii, .Lfunc_end28-_ZN2at6native12_GLOBAL__N_143conv_depthwise3d_cuda_backward_input_kernelIN3c108BFloat16EfLi3ELi3ELi3ELi1ELi1ELi1ELin1ELin1ELin1EEEvN5torch10headeronly6detail27GenericPackedTensorAccessorINS7_14TensorAccessorINS3_8ArrayRefIlEEKT_Lm4ENS6_16DefaultPtrTraitsEiEENS_6detail16IndexBoundsCheckILm5EiEESD_Lm5ESE_iEENS8_INS9_ISB_SC_Lm4ESE_iEESI_SC_Lm5ESE_iEESJ_iiiiiiiii
                                        ; -- End function
	.section	.AMDGPU.csdata,"",@progbits
; Kernel info:
; codeLenInByte = 6872
; NumSgprs: 107
; NumVgprs: 131
; ScratchSize: 0
; MemoryBound: 0
; FloatMode: 240
; IeeeMode: 1
; LDSByteSize: 0 bytes/workgroup (compile time only)
; SGPRBlocks: 13
; VGPRBlocks: 16
; NumSGPRsForWavesPerEU: 107
; NumVGPRsForWavesPerEU: 131
; Occupancy: 10
; WaveLimiterHint : 0
; COMPUTE_PGM_RSRC2:SCRATCH_EN: 0
; COMPUTE_PGM_RSRC2:USER_SGPR: 15
; COMPUTE_PGM_RSRC2:TRAP_HANDLER: 0
; COMPUTE_PGM_RSRC2:TGID_X_EN: 1
; COMPUTE_PGM_RSRC2:TGID_Y_EN: 0
; COMPUTE_PGM_RSRC2:TGID_Z_EN: 0
; COMPUTE_PGM_RSRC2:TIDIG_COMP_CNT: 0
	.section	.text._ZN2at6native12_GLOBAL__N_143conv_depthwise3d_cuda_backward_input_kernelIN3c108BFloat16EfLi3ELi3ELi3ELin1ELin1ELin1ELi1ELi1ELi1EEEvN5torch10headeronly6detail27GenericPackedTensorAccessorINS7_14TensorAccessorINS3_8ArrayRefIlEEKT_Lm4ENS6_16DefaultPtrTraitsEiEENS_6detail16IndexBoundsCheckILm5EiEESD_Lm5ESE_iEENS8_INS9_ISB_SC_Lm4ESE_iEESI_SC_Lm5ESE_iEESJ_iiiiiiiii,"axG",@progbits,_ZN2at6native12_GLOBAL__N_143conv_depthwise3d_cuda_backward_input_kernelIN3c108BFloat16EfLi3ELi3ELi3ELin1ELin1ELin1ELi1ELi1ELi1EEEvN5torch10headeronly6detail27GenericPackedTensorAccessorINS7_14TensorAccessorINS3_8ArrayRefIlEEKT_Lm4ENS6_16DefaultPtrTraitsEiEENS_6detail16IndexBoundsCheckILm5EiEESD_Lm5ESE_iEENS8_INS9_ISB_SC_Lm4ESE_iEESI_SC_Lm5ESE_iEESJ_iiiiiiiii,comdat
	.globl	_ZN2at6native12_GLOBAL__N_143conv_depthwise3d_cuda_backward_input_kernelIN3c108BFloat16EfLi3ELi3ELi3ELin1ELin1ELin1ELi1ELi1ELi1EEEvN5torch10headeronly6detail27GenericPackedTensorAccessorINS7_14TensorAccessorINS3_8ArrayRefIlEEKT_Lm4ENS6_16DefaultPtrTraitsEiEENS_6detail16IndexBoundsCheckILm5EiEESD_Lm5ESE_iEENS8_INS9_ISB_SC_Lm4ESE_iEESI_SC_Lm5ESE_iEESJ_iiiiiiiii ; -- Begin function _ZN2at6native12_GLOBAL__N_143conv_depthwise3d_cuda_backward_input_kernelIN3c108BFloat16EfLi3ELi3ELi3ELin1ELin1ELin1ELi1ELi1ELi1EEEvN5torch10headeronly6detail27GenericPackedTensorAccessorINS7_14TensorAccessorINS3_8ArrayRefIlEEKT_Lm4ENS6_16DefaultPtrTraitsEiEENS_6detail16IndexBoundsCheckILm5EiEESD_Lm5ESE_iEENS8_INS9_ISB_SC_Lm4ESE_iEESI_SC_Lm5ESE_iEESJ_iiiiiiiii
	.p2align	8
	.type	_ZN2at6native12_GLOBAL__N_143conv_depthwise3d_cuda_backward_input_kernelIN3c108BFloat16EfLi3ELi3ELi3ELin1ELin1ELin1ELi1ELi1ELi1EEEvN5torch10headeronly6detail27GenericPackedTensorAccessorINS7_14TensorAccessorINS3_8ArrayRefIlEEKT_Lm4ENS6_16DefaultPtrTraitsEiEENS_6detail16IndexBoundsCheckILm5EiEESD_Lm5ESE_iEENS8_INS9_ISB_SC_Lm4ESE_iEESI_SC_Lm5ESE_iEESJ_iiiiiiiii,@function
_ZN2at6native12_GLOBAL__N_143conv_depthwise3d_cuda_backward_input_kernelIN3c108BFloat16EfLi3ELi3ELi3ELin1ELin1ELin1ELi1ELi1ELi1EEEvN5torch10headeronly6detail27GenericPackedTensorAccessorINS7_14TensorAccessorINS3_8ArrayRefIlEEKT_Lm4ENS6_16DefaultPtrTraitsEiEENS_6detail16IndexBoundsCheckILm5EiEESD_Lm5ESE_iEENS8_INS9_ISB_SC_Lm4ESE_iEESI_SC_Lm5ESE_iEESJ_iiiiiiiii: ; @_ZN2at6native12_GLOBAL__N_143conv_depthwise3d_cuda_backward_input_kernelIN3c108BFloat16EfLi3ELi3ELi3ELin1ELin1ELin1ELi1ELi1ELi1EEEvN5torch10headeronly6detail27GenericPackedTensorAccessorINS7_14TensorAccessorINS3_8ArrayRefIlEEKT_Lm4ENS6_16DefaultPtrTraitsEiEENS_6detail16IndexBoundsCheckILm5EiEESD_Lm5ESE_iEENS8_INS9_ISB_SC_Lm4ESE_iEESI_SC_Lm5ESE_iEESJ_iiiiiiiii
; %bb.0:
	s_clause 0x2
	s_load_b128 s[8:11], s[0:1], 0x38
	s_load_b32 s4, s[0:1], 0xc4
	s_load_b64 s[24:25], s[0:1], 0x48
	s_mov_b32 s6, exec_lo
	s_waitcnt lgkmcnt(0)
	s_abs_i32 s7, s9
	s_add_u32 s2, s0, 0xb8
	v_cvt_f32_u32_e32 v1, s7
	s_addc_u32 s3, s1, 0
	s_and_b32 s4, s4, 0xffff
	s_mul_i32 s26, s25, s8
	s_delay_alu instid0(SALU_CYCLE_1) | instskip(SKIP_3) | instid1(VALU_DEP_1)
	s_ashr_i32 s27, s26, 31
	v_rcp_iflag_f32_e32 v2, v1
	s_waitcnt_depctr 0xfff
	v_dual_mov_b32 v1, 0 :: v_dual_mul_f32 v4, 0x4f7ffffe, v2
	v_mad_u64_u32 v[2:3], null, s4, s15, v[0:1]
	s_delay_alu instid0(VALU_DEP_2) | instskip(NEXT) | instid1(VALU_DEP_1)
	v_cvt_u32_f32_e32 v0, v4
	v_readfirstlane_b32 s5, v0
	s_delay_alu instid0(VALU_DEP_3)
	v_cmpx_gt_i64_e64 s[26:27], v[2:3]
	s_cbranch_execz .LBB29_60
; %bb.1:
	s_clause 0x1
	s_load_b128 s[12:15], s[0:1], 0xc
	s_load_b64 s[28:29], s[0:1], 0x0
	s_sub_i32 s6, 0, s7
	s_mov_b32 s41, 0
	s_mul_i32 s8, s6, s5
	v_mul_lo_u32 v6, s6, v0
	s_mul_hi_u32 s8, s5, s8
	s_delay_alu instid0(SALU_CYCLE_1) | instskip(SKIP_1) | instid1(VALU_DEP_1)
	s_add_i32 s5, s5, s8
	s_ashr_i32 s8, s9, 31
	v_mul_hi_u32 v6, v0, v6
	s_waitcnt lgkmcnt(0)
	s_abs_i32 s16, s12
	s_ashr_i32 s12, s12, 31
	s_mul_hi_u32 s5, s16, s5
	s_xor_b32 s48, s12, s8
	s_mul_i32 s17, s5, s7
	s_delay_alu instid0(VALU_DEP_1)
	v_add_nc_u32_e32 v63, v0, v6
	s_sub_i32 s12, s16, s17
	s_add_i32 s16, s5, 1
	s_sub_i32 s17, s12, s7
	s_cmp_ge_u32 s12, s7
	s_cselect_b32 s5, s16, s5
	s_cselect_b32 s12, s17, s12
	s_add_i32 s16, s5, 1
	s_cmp_ge_u32 s12, s7
	s_cselect_b32 s5, s16, s5
	s_abs_i32 s12, s24
	s_abs_i32 s33, s11
	v_cvt_f32_u32_e32 v1, s12
	v_cvt_f32_u32_e32 v4, s33
	s_abs_i32 s40, s10
	s_load_b64 s[30:31], s[0:1], 0xac
	s_load_b32 s2, s[2:3], 0x0
	s_clause 0x3
	s_load_b128 s[16:19], s[0:1], 0x9c
	s_load_b32 s42, s[0:1], 0x7c
	s_load_b64 s[34:35], s[0:1], 0x1c
	s_load_b64 s[36:37], s[0:1], 0x30
	v_cvt_f32_u32_e32 v5, s40
	v_rcp_iflag_f32_e32 v1, v1
	v_rcp_iflag_f32_e32 v4, v4
	s_sub_i32 s3, 0, s12
	s_sub_i32 s6, 0, s33
	v_rcp_iflag_f32_e32 v5, v5
	s_sub_i32 s20, 0, s40
	s_ashr_i32 s47, s24, 31
	s_ashr_i32 s49, s11, 31
	;; [unrolled: 1-line block ×3, first 2 shown]
	s_waitcnt_depctr 0xfff
	v_dual_mul_f32 v1, 0x4f7ffffe, v1 :: v_dual_mul_f32 v4, 0x4f7ffffe, v4
	s_waitcnt lgkmcnt(0)
	s_lshl_b32 s44, s31, 1
	s_mul_i32 s43, s2, s4
	s_delay_alu instid0(VALU_DEP_1) | instskip(SKIP_3) | instid1(VALU_DEP_2)
	v_cvt_u32_f32_e32 v1, v1
	v_cvt_u32_f32_e32 v4, v4
	s_lshl_b32 s45, s30, 1
	s_lshl_b32 s46, s19, 1
	v_mul_lo_u32 v7, s3, v1
	s_delay_alu instid0(VALU_DEP_2) | instskip(NEXT) | instid1(VALU_DEP_2)
	v_mul_lo_u32 v8, s6, v4
	v_mul_hi_u32 v7, v1, v7
	v_mul_f32_e32 v5, 0x4f7ffffe, v5
	s_delay_alu instid0(VALU_DEP_3) | instskip(NEXT) | instid1(VALU_DEP_3)
	v_mul_hi_u32 v8, v4, v8
	v_add_nc_u32_e32 v60, v1, v7
	s_delay_alu instid0(VALU_DEP_3) | instskip(NEXT) | instid1(VALU_DEP_3)
	v_cvt_u32_f32_e32 v5, v5
	v_add_nc_u32_e32 v61, v4, v8
	s_delay_alu instid0(VALU_DEP_2) | instskip(SKIP_4) | instid1(SALU_CYCLE_1)
	v_mul_lo_u32 v9, s20, v5
	s_clause 0x1
	s_load_b64 s[38:39], s[0:1], 0x60
	s_load_b128 s[20:23], s[0:1], 0x50
	s_xor_b32 s0, s5, s48
	s_sub_i32 s48, s0, s48
	s_delay_alu instid0(SALU_CYCLE_1) | instskip(NEXT) | instid1(VALU_DEP_1)
	s_mul_i32 s51, s35, s48
	v_mul_hi_u32 v9, v5, v9
	s_delay_alu instid0(VALU_DEP_1)
	v_add_nc_u32_e32 v62, v5, v9
	s_branch .LBB29_3
.LBB29_2:                               ;   in Loop: Header=BB29_3 Depth=1
	s_or_b32 exec_lo, exec_lo, s52
	v_mul_lo_u32 v0, v68, s25
	s_waitcnt lgkmcnt(0)
	v_mul_lo_u32 v4, s20, v66
	v_bfe_u32 v5, v71, 16, 1
	v_mul_lo_u32 v6, s21, v67
	v_mul_lo_u32 v8, s22, v65
	;; [unrolled: 1-line block ×3, first 2 shown]
	s_delay_alu instid0(VALU_DEP_4) | instskip(SKIP_3) | instid1(VALU_DEP_4)
	v_add3_u32 v12, v71, v5, 0x7fff
	v_ashrrev_i32_e32 v1, 31, v0
	v_ashrrev_i32_e32 v5, 31, v4
	v_ashrrev_i32_e32 v7, 31, v6
	v_lshrrev_b32_e32 v12, 16, v12
	s_delay_alu instid0(VALU_DEP_4) | instskip(NEXT) | instid1(VALU_DEP_4)
	v_lshlrev_b64 v[0:1], 1, v[0:1]
	v_lshlrev_b64 v[4:5], 1, v[4:5]
	v_ashrrev_i32_e32 v9, 31, v8
	v_ashrrev_i32_e32 v11, 31, v10
	s_delay_alu instid0(VALU_DEP_4) | instskip(SKIP_2) | instid1(VALU_DEP_3)
	v_add_co_u32 v13, vcc_lo, s36, v0
	v_add_co_ci_u32_e32 v14, vcc_lo, s37, v1, vcc_lo
	v_lshlrev_b64 v[0:1], 1, v[6:7]
	v_add_co_u32 v4, vcc_lo, v13, v4
	s_delay_alu instid0(VALU_DEP_3) | instskip(SKIP_2) | instid1(VALU_DEP_4)
	v_add_co_ci_u32_e32 v5, vcc_lo, v14, v5, vcc_lo
	v_cmp_o_f32_e32 vcc_lo, v71, v71
	v_cndmask_b32_e32 v6, 0x7fc0, v12, vcc_lo
	v_add_co_u32 v7, vcc_lo, v4, v0
	s_delay_alu instid0(VALU_DEP_4) | instskip(SKIP_4) | instid1(VALU_DEP_4)
	v_add_co_ci_u32_e32 v12, vcc_lo, v5, v1, vcc_lo
	v_lshlrev_b64 v[0:1], 1, v[8:9]
	v_add_co_u32 v2, vcc_lo, v2, s43
	v_lshlrev_b64 v[4:5], 1, v[10:11]
	v_add_co_ci_u32_e32 v3, vcc_lo, 0, v3, vcc_lo
	v_add_co_u32 v0, vcc_lo, v7, v0
	v_add_co_ci_u32_e32 v1, vcc_lo, v12, v1, vcc_lo
	s_delay_alu instid0(VALU_DEP_3) | instskip(NEXT) | instid1(VALU_DEP_3)
	v_cmp_le_i64_e32 vcc_lo, s[26:27], v[2:3]
	v_add_co_u32 v0, s0, v0, v4
	s_delay_alu instid0(VALU_DEP_1)
	v_add_co_ci_u32_e64 v1, s0, v1, v5, s0
	s_or_b32 s41, vcc_lo, s41
	global_store_b16 v[0:1], v6, off
	s_and_not1_b32 exec_lo, exec_lo, s41
	s_cbranch_execz .LBB29_60
.LBB29_3:                               ; =>This Loop Header: Depth=1
                                        ;     Child Loop BB29_6 Depth 2
	v_sub_nc_u32_e32 v0, 0, v2
	s_mov_b32 s52, exec_lo
	v_mov_b32_e32 v71, 0
	s_delay_alu instid0(VALU_DEP_2) | instskip(NEXT) | instid1(VALU_DEP_1)
	v_max_i32_e32 v0, v2, v0
	v_mul_hi_u32 v1, v0, v60
	s_delay_alu instid0(VALU_DEP_1) | instskip(NEXT) | instid1(VALU_DEP_1)
	v_mul_lo_u32 v4, v1, s12
	v_sub_nc_u32_e32 v0, v0, v4
	v_add_nc_u32_e32 v4, 1, v1
	s_delay_alu instid0(VALU_DEP_2) | instskip(SKIP_1) | instid1(VALU_DEP_2)
	v_subrev_nc_u32_e32 v5, s12, v0
	v_cmp_le_u32_e32 vcc_lo, s12, v0
	v_dual_cndmask_b32 v1, v1, v4 :: v_dual_cndmask_b32 v0, v0, v5
	v_ashrrev_i32_e32 v4, 31, v2
	s_delay_alu instid0(VALU_DEP_2) | instskip(NEXT) | instid1(VALU_DEP_3)
	v_add_nc_u32_e32 v5, 1, v1
	v_cmp_le_u32_e32 vcc_lo, s12, v0
	s_delay_alu instid0(VALU_DEP_3) | instskip(NEXT) | instid1(VALU_DEP_3)
	v_xor_b32_e32 v4, s47, v4
	v_cndmask_b32_e32 v0, v1, v5, vcc_lo
	s_delay_alu instid0(VALU_DEP_1) | instskip(NEXT) | instid1(VALU_DEP_1)
	v_xor_b32_e32 v0, v0, v4
	v_sub_nc_u32_e32 v1, v0, v4
	s_delay_alu instid0(VALU_DEP_1) | instskip(NEXT) | instid1(VALU_DEP_1)
	v_sub_nc_u32_e32 v0, 0, v1
	v_max_i32_e32 v0, v1, v0
	s_delay_alu instid0(VALU_DEP_1) | instskip(NEXT) | instid1(VALU_DEP_1)
	v_mul_hi_u32 v4, v0, v61
	v_mul_lo_u32 v5, v4, s33
	s_delay_alu instid0(VALU_DEP_1) | instskip(SKIP_1) | instid1(VALU_DEP_2)
	v_sub_nc_u32_e32 v0, v0, v5
	v_add_nc_u32_e32 v5, 1, v4
	v_subrev_nc_u32_e32 v6, s33, v0
	v_cmp_le_u32_e32 vcc_lo, s33, v0
	s_delay_alu instid0(VALU_DEP_3) | instskip(NEXT) | instid1(VALU_DEP_3)
	v_cndmask_b32_e32 v4, v4, v5, vcc_lo
	v_cndmask_b32_e32 v0, v0, v6, vcc_lo
	v_ashrrev_i32_e32 v5, 31, v1
	s_delay_alu instid0(VALU_DEP_3) | instskip(NEXT) | instid1(VALU_DEP_3)
	v_add_nc_u32_e32 v6, 1, v4
	v_cmp_le_u32_e32 vcc_lo, s33, v0
	s_delay_alu instid0(VALU_DEP_3) | instskip(NEXT) | instid1(VALU_DEP_3)
	v_xor_b32_e32 v5, s49, v5
	v_cndmask_b32_e32 v0, v4, v6, vcc_lo
	s_delay_alu instid0(VALU_DEP_1) | instskip(NEXT) | instid1(VALU_DEP_1)
	v_xor_b32_e32 v0, v0, v5
	v_sub_nc_u32_e32 v4, v0, v5
	s_delay_alu instid0(VALU_DEP_1) | instskip(NEXT) | instid1(VALU_DEP_1)
	v_sub_nc_u32_e32 v0, 0, v4
	v_max_i32_e32 v0, v4, v0
	s_delay_alu instid0(VALU_DEP_1) | instskip(NEXT) | instid1(VALU_DEP_1)
	v_mul_hi_u32 v5, v0, v62
	v_mul_lo_u32 v6, v5, s40
	s_delay_alu instid0(VALU_DEP_1) | instskip(SKIP_1) | instid1(VALU_DEP_2)
	v_sub_nc_u32_e32 v0, v0, v6
	v_add_nc_u32_e32 v6, 1, v5
	v_subrev_nc_u32_e32 v7, s40, v0
	v_cmp_le_u32_e32 vcc_lo, s40, v0
	s_delay_alu instid0(VALU_DEP_2) | instskip(SKIP_1) | instid1(VALU_DEP_2)
	v_dual_cndmask_b32 v5, v5, v6 :: v_dual_cndmask_b32 v0, v0, v7
	v_ashrrev_i32_e32 v6, 31, v4
	v_add_nc_u32_e32 v7, 1, v5
	s_delay_alu instid0(VALU_DEP_3) | instskip(NEXT) | instid1(VALU_DEP_3)
	v_cmp_le_u32_e32 vcc_lo, s40, v0
	v_xor_b32_e32 v6, s50, v6
	s_delay_alu instid0(VALU_DEP_3) | instskip(NEXT) | instid1(VALU_DEP_1)
	v_cndmask_b32_e32 v0, v5, v7, vcc_lo
	v_xor_b32_e32 v0, v0, v6
	s_delay_alu instid0(VALU_DEP_1) | instskip(NEXT) | instid1(VALU_DEP_1)
	v_sub_nc_u32_e32 v5, v0, v6
	v_sub_nc_u32_e32 v0, 0, v5
	s_delay_alu instid0(VALU_DEP_1) | instskip(NEXT) | instid1(VALU_DEP_1)
	v_max_i32_e32 v0, v5, v0
	v_mul_hi_u32 v6, v0, v63
	s_delay_alu instid0(VALU_DEP_1) | instskip(NEXT) | instid1(VALU_DEP_1)
	v_mul_lo_u32 v7, v6, s7
	v_sub_nc_u32_e32 v0, v0, v7
	v_add_nc_u32_e32 v7, 1, v6
	s_delay_alu instid0(VALU_DEP_2) | instskip(SKIP_1) | instid1(VALU_DEP_3)
	v_subrev_nc_u32_e32 v8, s7, v0
	v_cmp_le_u32_e32 vcc_lo, s7, v0
	v_cndmask_b32_e32 v6, v6, v7, vcc_lo
	s_delay_alu instid0(VALU_DEP_3) | instskip(SKIP_1) | instid1(VALU_DEP_3)
	v_cndmask_b32_e32 v0, v0, v8, vcc_lo
	v_ashrrev_i32_e32 v7, 31, v5
	v_add_nc_u32_e32 v8, 1, v6
	s_delay_alu instid0(VALU_DEP_3) | instskip(NEXT) | instid1(VALU_DEP_3)
	v_cmp_le_u32_e32 vcc_lo, s7, v0
	v_xor_b32_e32 v7, s8, v7
	s_delay_alu instid0(VALU_DEP_3) | instskip(SKIP_1) | instid1(VALU_DEP_2)
	v_cndmask_b32_e32 v0, v6, v8, vcc_lo
	v_mul_lo_u32 v6, v1, s24
	v_xor_b32_e32 v0, v0, v7
	s_delay_alu instid0(VALU_DEP_2) | instskip(NEXT) | instid1(VALU_DEP_2)
	v_sub_nc_u32_e32 v64, v2, v6
	v_sub_nc_u32_e32 v68, v0, v7
	v_mul_lo_u32 v7, v4, s11
	s_delay_alu instid0(VALU_DEP_2) | instskip(NEXT) | instid1(VALU_DEP_2)
	v_mul_lo_u32 v0, v68, s9
	v_sub_nc_u32_e32 v65, v1, v7
	s_delay_alu instid0(VALU_DEP_2) | instskip(SKIP_1) | instid1(VALU_DEP_2)
	v_sub_nc_u32_e32 v66, v5, v0
	v_mul_lo_u32 v5, v5, s10
	v_mul_lo_u32 v0, v66, s48
	s_delay_alu instid0(VALU_DEP_2) | instskip(NEXT) | instid1(VALU_DEP_2)
	v_sub_nc_u32_e32 v67, v4, v5
	v_add_nc_u32_e32 v8, s48, v0
	s_delay_alu instid0(VALU_DEP_1)
	v_cmpx_lt_i32_e64 v0, v8
	s_cbranch_execz .LBB29_2
; %bb.4:                                ;   in Loop: Header=BB29_3 Depth=1
	v_mul_lo_u32 v0, s42, v0
	v_add_nc_u32_e32 v21, s16, v67
	v_mul_lo_u32 v5, s34, v68
	v_add_nc_u32_e32 v40, s17, v65
	v_add_nc_u32_e32 v4, s18, v64
	s_delay_alu instid0(VALU_DEP_4) | instskip(SKIP_2) | instid1(VALU_DEP_4)
	v_mul_lo_u32 v17, v21, s14
	v_cmp_gt_i32_e64 s5, s13, v21
	v_ashrrev_i32_e32 v1, 31, v0
	v_or_b32_e32 v9, v4, v40
	v_ashrrev_i32_e32 v6, 31, v5
	v_cmp_gt_i32_e64 s4, s14, v40
	v_subrev_nc_u32_e32 v58, s44, v4
	v_lshlrev_b64 v[0:1], 1, v[0:1]
	v_add_nc_u32_e32 v7, v40, v17
	v_lshlrev_b64 v[5:6], 1, v[5:6]
	v_subrev_nc_u32_e32 v44, s30, v40
	v_subrev_nc_u32_e32 v8, s45, v40
	;; [unrolled: 1-line block ×3, first 2 shown]
	s_waitcnt lgkmcnt(0)
	v_add_co_u32 v0, vcc_lo, s38, v0
	v_mul_lo_u32 v11, v7, s15
	v_subrev_nc_u32_e32 v7, s31, v4
	v_add_co_ci_u32_e32 v1, vcc_lo, s39, v1, vcc_lo
	v_add_co_u32 v69, vcc_lo, s28, v5
	v_or_b32_e32 v5, v9, v21
	s_delay_alu instid0(VALU_DEP_4) | instskip(SKIP_2) | instid1(VALU_DEP_4)
	v_or_b32_e32 v10, v7, v40
	v_add_co_ci_u32_e32 v70, vcc_lo, s29, v6, vcc_lo
	v_cmp_gt_i32_e32 vcc_lo, s15, v4
	v_cmp_lt_i32_e64 s0, -1, v5
	s_delay_alu instid0(VALU_DEP_4)
	v_or_b32_e32 v12, v10, v21
	v_or_b32_e32 v14, v4, v44
	;; [unrolled: 1-line block ×4, first 2 shown]
	s_and_b32 s0, vcc_lo, s0
	v_cmp_lt_i32_e64 s1, -1, v12
	s_and_b32 s0, s0, s4
	v_or_b32_e32 v12, v58, v40
	s_and_b32 s53, s0, s5
	v_cmp_gt_i32_e64 s0, s15, v7
	v_or_b32_e32 v15, v16, v21
	v_or_b32_e32 v29, v18, v21
	v_or_b32_e32 v13, v12, v21
	v_or_b32_e32 v20, v4, v8
	s_and_b32 s1, s0, s1
	v_or_b32_e32 v22, v7, v8
	s_and_b32 s1, s1, s4
	v_cmp_lt_i32_e64 s2, -1, v13
	s_and_b32 s54, s1, s5
	v_cmp_gt_i32_e64 s1, s15, v58
	v_or_b32_e32 v13, v14, v21
	v_or_b32_e32 v25, v58, v8
	;; [unrolled: 1-line block ×4, first 2 shown]
	s_and_b32 s2, s1, s2
	v_cmp_lt_i32_e64 s3, -1, v13
	s_and_b32 s2, s2, s4
	s_and_b32 s71, vcc_lo, s4
	s_and_b32 s55, s2, s5
	v_cmp_gt_i32_e64 s2, s14, v44
	s_and_b32 s3, vcc_lo, s3
	v_or_b32_e32 v27, v12, v24
	v_or_b32_e32 v28, v14, v24
	s_and_b32 s72, s0, s4
	s_and_b32 s6, s3, s2
	v_cmp_lt_i32_e64 s3, -1, v15
	s_and_b32 s56, s6, s5
	v_or_b32_e32 v30, v16, v24
	s_and_b32 s73, s1, s4
	v_cmp_lt_i32_e64 s4, -1, v28
	s_and_b32 s3, s0, s3
	v_or_b32_e32 v32, v18, v24
	s_and_b32 s3, s3, s2
	v_or_b32_e32 v34, v20, v24
	s_and_b32 s57, s3, s5
	v_cmp_lt_i32_e64 s3, -1, v29
	v_or_b32_e32 v29, v20, v21
	v_or_b32_e32 v36, v22, v24
	;; [unrolled: 1-line block ×3, first 2 shown]
	v_subrev_nc_u32_e32 v42, s46, v21
	s_and_b32 s3, s1, s3
	v_cmp_lt_i32_e64 s6, -1, v29
	s_and_b32 s3, s3, s2
	v_or_b32_e32 v29, v22, v21
	s_and_b32 s58, s3, s5
	v_cmp_gt_i32_e64 s3, s14, v8
	s_and_b32 s6, vcc_lo, s6
	v_or_b32_e32 v43, v9, v42
	v_or_b32_e32 v45, v10, v42
	;; [unrolled: 1-line block ×3, first 2 shown]
	s_and_b32 s59, s6, s3
	v_cmp_lt_i32_e64 s6, -1, v29
	v_or_b32_e32 v29, v25, v21
	s_and_b32 s59, s59, s5
	v_or_b32_e32 v47, v14, v42
	v_add_nc_u32_e32 v12, v44, v17
	s_and_b32 s6, s0, s6
	v_or_b32_e32 v50, v18, v42
	s_and_b32 s6, s6, s3
	v_add_nc_u32_e32 v18, v8, v17
	s_and_b32 s60, s6, s5
	v_cmp_lt_i32_e64 s6, -1, v29
	v_or_b32_e32 v48, v16, v42
	v_mul_lo_u32 v19, v12, s15
	v_mul_lo_u32 v31, v18, s15
	;; [unrolled: 1-line block ×3, first 2 shown]
	s_and_b32 s6, s1, s6
	v_mul_lo_u32 v51, v42, s14
	s_and_b32 s61, s6, s3
	v_cmp_lt_i32_e64 s6, -1, v23
	s_and_b32 s61, s61, s5
	v_cmp_gt_i32_e64 s5, s13, v24
	v_or_b32_e32 v52, v20, v42
	v_add_nc_u32_e32 v13, v4, v19
	s_and_b32 s62, s71, s6
	v_cmp_lt_i32_e64 s6, -1, v26
	s_and_b32 s62, s62, s5
	v_add_nc_u32_e32 v15, v7, v19
	v_add_nc_u32_e32 v17, v58, v19
	;; [unrolled: 1-line block ×3, first 2 shown]
	s_and_b32 s63, s72, s6
	v_cmp_lt_i32_e64 s6, -1, v27
	s_and_b32 s63, s63, s5
	v_add_nc_u32_e32 v21, v7, v31
	v_add_nc_u32_e32 v29, v40, v33
	;; [unrolled: 1-line block ×3, first 2 shown]
	s_and_b32 s6, s73, s6
	v_add_nc_u32_e32 v31, v44, v33
	s_and_b32 s64, s6, s5
	s_and_b32 s6, vcc_lo, s4
	v_cmp_lt_i32_e64 s4, -1, v30
	s_and_b32 s6, s6, s2
	v_add_nc_u32_e32 v37, v8, v33
	s_and_b32 s65, s6, s5
	v_add_nc_u32_e32 v49, v40, v51
	s_and_b32 s6, s0, s4
	v_cmp_lt_i32_e64 s4, -1, v32
	s_and_b32 s6, s6, s2
	v_add_nc_u32_e32 v8, v8, v51
	s_and_b32 s66, s6, s5
	v_mul_lo_u32 v29, v29, s15
	s_and_b32 s67, s1, s4
	v_cmp_lt_i32_e64 s4, -1, v34
	s_and_b32 s6, s67, s2
	v_mul_lo_u32 v35, v31, s15
	s_and_b32 s67, s6, s5
	v_mul_lo_u32 v41, v37, s15
	s_and_b32 s4, vcc_lo, s4
	v_mul_lo_u32 v49, v49, s15
	s_and_b32 s6, s4, s3
	v_cmp_lt_i32_e64 s4, -1, v36
	s_and_b32 s68, s6, s5
	v_mul_lo_u32 v8, v8, s15
	v_or_b32_e32 v57, v25, v42
	v_add_nc_u32_e32 v5, v4, v11
	s_and_b32 s6, s0, s4
	v_cmp_lt_i32_e64 s4, -1, v39
	s_and_b32 s6, s6, s3
	v_add_nc_u32_e32 v9, v7, v11
	s_and_b32 s69, s6, s5
	v_add_nc_u32_e32 v11, v58, v11
	s_and_b32 s4, s1, s4
	v_or_b32_e32 v56, v22, v42
	s_and_b32 s6, s4, s3
	v_cmp_lt_i32_e64 s4, -1, v43
	s_and_b32 s70, s6, s5
	v_cmp_gt_i32_e64 s5, s13, v42
	v_cmp_lt_i32_e64 s6, -1, v45
	v_add_nc_u32_e32 v25, v4, v29
	s_and_b32 s4, s71, s4
	v_add_nc_u32_e32 v27, v7, v29
	s_and_b32 s71, s4, s5
	v_cmp_lt_i32_e64 s4, -1, v46
	s_and_b32 s6, s72, s6
	v_add_nc_u32_e32 v46, v44, v51
	s_and_b32 s72, s6, s5
	v_add_nc_u32_e32 v29, v58, v29
	s_and_b32 s6, s73, s4
	v_cmp_lt_i32_e64 s4, -1, v47
	s_and_b32 s73, s6, s5
	v_cmp_lt_i32_e64 s6, -1, v48
	v_mul_lo_u32 v53, v46, s15
	v_add_nc_u32_e32 v31, v4, v35
	s_and_b32 s4, vcc_lo, s4
	v_add_nc_u32_e32 v33, v7, v35
	s_and_b32 s4, s4, s2
	s_and_b32 s74, s0, s6
	;; [unrolled: 1-line block ×3, first 2 shown]
	v_cmp_lt_i32_e64 s4, -1, v50
	s_and_b32 s74, s74, s2
	v_add_nc_u32_e32 v35, v58, v35
	v_add_nc_u32_e32 v37, v4, v41
	;; [unrolled: 1-line block ×3, first 2 shown]
	s_and_b32 s75, s1, s4
	v_cmp_lt_i32_e64 s4, -1, v52
	s_and_b32 s2, s75, s2
	v_add_nc_u32_e32 v41, v58, v41
	s_and_b32 s75, s2, s5
	v_add_nc_u32_e32 v43, v4, v49
	s_and_b32 s2, vcc_lo, s4
	v_add_nc_u32_e32 v45, v7, v49
	s_and_b32 s2, s2, s3
	v_add_nc_u32_e32 v47, v58, v49
	v_add_nc_u32_e32 v49, v4, v53
	;; [unrolled: 1-line block ×5, first 2 shown]
	s_and_b32 s4, s2, s5
	v_cmp_lt_i32_e64 s2, -1, v57
	v_add_nc_u32_e32 v57, v7, v8
	v_add_nc_u32_e32 v71, v58, v8
	v_ashrrev_i32_e32 v6, 31, v5
	v_ashrrev_i32_e32 v10, 31, v9
	;; [unrolled: 1-line block ×24, first 2 shown]
	v_cmp_lt_i32_e32 vcc_lo, -1, v56
	v_ashrrev_i32_e32 v56, 31, v55
	v_ashrrev_i32_e32 v58, 31, v57
	;; [unrolled: 1-line block ×3, first 2 shown]
	v_mul_lo_u32 v4, s51, v66
	s_and_b32 s0, s0, vcc_lo
	s_and_b32 s1, s1, s2
	v_lshlrev_b64 v[6:7], 1, v[5:6]
	v_lshlrev_b64 v[8:9], 1, v[9:10]
	;; [unrolled: 1-line block ×27, first 2 shown]
	v_mov_b32_e32 v71, 0
	s_and_b32 s0, s0, s3
	s_and_b32 s1, s1, s3
	;; [unrolled: 1-line block ×5, first 2 shown]
	s_mov_b32 s2, s48
	s_branch .LBB29_6
.LBB29_5:                               ;   in Loop: Header=BB29_6 Depth=2
	s_or_b32 exec_lo, exec_lo, s3
	s_waitcnt vmcnt(25)
	v_lshlrev_b32_e32 v73, 16, v76
	v_lshlrev_b32_e32 v72, 16, v72
	v_add_co_u32 v0, vcc_lo, v0, 54
	v_add_co_ci_u32_e32 v1, vcc_lo, 0, v1, vcc_lo
	s_delay_alu instid0(VALU_DEP_3)
	v_fmac_f32_e32 v71, v5, v72
	s_waitcnt vmcnt(24)
	v_lshlrev_b32_e32 v5, 16, v78
	s_add_i32 s2, s2, -1
	v_add_nc_u32_e32 v4, s35, v4
	s_cmp_eq_u32 s2, 0
	s_waitcnt vmcnt(23)
	v_dual_fmac_f32 v71, v77, v73 :: v_dual_lshlrev_b32 v72, 16, v80
	s_delay_alu instid0(VALU_DEP_1) | instskip(SKIP_2) | instid1(VALU_DEP_2)
	v_fmac_f32_e32 v71, v75, v5
	s_waitcnt vmcnt(22)
	v_lshlrev_b32_e32 v5, 16, v82
	v_fmac_f32_e32 v71, v81, v72
	s_waitcnt vmcnt(21)
	s_delay_alu instid0(VALU_DEP_1) | instskip(SKIP_2) | instid1(VALU_DEP_2)
	v_dual_fmac_f32 v71, v79, v5 :: v_dual_lshlrev_b32 v72, 16, v84
	s_waitcnt vmcnt(20)
	v_lshlrev_b32_e32 v5, 16, v86
	v_fmac_f32_e32 v71, v85, v72
	s_waitcnt vmcnt(19)
	s_delay_alu instid0(VALU_DEP_1) | instskip(SKIP_2) | instid1(VALU_DEP_2)
	v_dual_fmac_f32 v71, v83, v5 :: v_dual_lshlrev_b32 v72, 16, v88
	;; [unrolled: 6-line block ×11, first 2 shown]
	s_waitcnt vmcnt(0)
	v_lshlrev_b32_e32 v5, 16, v126
	v_fmac_f32_e32 v71, v125, v72
	s_delay_alu instid0(VALU_DEP_1)
	v_fmac_f32_e32 v71, v123, v5
	s_cbranch_scc1 .LBB29_2
.LBB29_6:                               ;   Parent Loop BB29_3 Depth=1
                                        ; =>  This Inner Loop Header: Depth=2
	global_load_u16 v72, v[0:1], off
	v_ashrrev_i32_e32 v5, 31, v4
	s_delay_alu instid0(VALU_DEP_1) | instskip(SKIP_1) | instid1(VALU_DEP_2)
	v_lshlrev_b64 v[73:74], 1, v[4:5]
	v_mov_b32_e32 v5, 0
	v_add_co_u32 v73, vcc_lo, v69, v73
	s_delay_alu instid0(VALU_DEP_3)
	v_add_co_ci_u32_e32 v74, vcc_lo, v70, v74, vcc_lo
	s_and_saveexec_b32 s3, s53
	s_cbranch_execz .LBB29_8
; %bb.7:                                ;   in Loop: Header=BB29_6 Depth=2
	s_delay_alu instid0(VALU_DEP_2) | instskip(NEXT) | instid1(VALU_DEP_2)
	v_add_co_u32 v75, vcc_lo, v73, v6
	v_add_co_ci_u32_e32 v76, vcc_lo, v74, v7, vcc_lo
	global_load_u16 v5, v[75:76], off
	s_waitcnt vmcnt(0)
	v_lshlrev_b32_e32 v5, 16, v5
.LBB29_8:                               ;   in Loop: Header=BB29_6 Depth=2
	s_or_b32 exec_lo, exec_lo, s3
	global_load_u16 v76, v[0:1], off offset:2
	v_mov_b32_e32 v75, 0
	v_mov_b32_e32 v77, 0
	s_and_saveexec_b32 s3, s54
	s_cbranch_execz .LBB29_10
; %bb.9:                                ;   in Loop: Header=BB29_6 Depth=2
	v_add_co_u32 v77, vcc_lo, v73, v8
	v_add_co_ci_u32_e32 v78, vcc_lo, v74, v9, vcc_lo
	global_load_u16 v77, v[77:78], off
	s_waitcnt vmcnt(0)
	v_lshlrev_b32_e32 v77, 16, v77
.LBB29_10:                              ;   in Loop: Header=BB29_6 Depth=2
	s_or_b32 exec_lo, exec_lo, s3
	global_load_u16 v78, v[0:1], off offset:4
	s_and_saveexec_b32 s3, s55
	s_cbranch_execz .LBB29_12
; %bb.11:                               ;   in Loop: Header=BB29_6 Depth=2
	v_add_co_u32 v79, vcc_lo, v73, v10
	v_add_co_ci_u32_e32 v80, vcc_lo, v74, v11, vcc_lo
	global_load_u16 v75, v[79:80], off
	s_waitcnt vmcnt(0)
	v_lshlrev_b32_e32 v75, 16, v75
.LBB29_12:                              ;   in Loop: Header=BB29_6 Depth=2
	s_or_b32 exec_lo, exec_lo, s3
	global_load_u16 v80, v[0:1], off offset:6
	v_mov_b32_e32 v79, 0
	v_mov_b32_e32 v81, 0
	s_and_saveexec_b32 s3, s56
	s_cbranch_execz .LBB29_14
; %bb.13:                               ;   in Loop: Header=BB29_6 Depth=2
	v_add_co_u32 v81, vcc_lo, v73, v12
	v_add_co_ci_u32_e32 v82, vcc_lo, v74, v13, vcc_lo
	global_load_u16 v81, v[81:82], off
	s_waitcnt vmcnt(0)
	v_lshlrev_b32_e32 v81, 16, v81
.LBB29_14:                              ;   in Loop: Header=BB29_6 Depth=2
	s_or_b32 exec_lo, exec_lo, s3
	global_load_u16 v82, v[0:1], off offset:8
	s_and_saveexec_b32 s3, s57
	s_cbranch_execz .LBB29_16
; %bb.15:                               ;   in Loop: Header=BB29_6 Depth=2
	v_add_co_u32 v83, vcc_lo, v73, v14
	v_add_co_ci_u32_e32 v84, vcc_lo, v74, v15, vcc_lo
	global_load_u16 v79, v[83:84], off
	s_waitcnt vmcnt(0)
	v_lshlrev_b32_e32 v79, 16, v79
.LBB29_16:                              ;   in Loop: Header=BB29_6 Depth=2
	s_or_b32 exec_lo, exec_lo, s3
	global_load_u16 v84, v[0:1], off offset:10
	v_mov_b32_e32 v83, 0
	v_mov_b32_e32 v85, 0
	s_and_saveexec_b32 s3, s58
	s_cbranch_execz .LBB29_18
; %bb.17:                               ;   in Loop: Header=BB29_6 Depth=2
	v_add_co_u32 v85, vcc_lo, v73, v16
	v_add_co_ci_u32_e32 v86, vcc_lo, v74, v17, vcc_lo
	global_load_u16 v85, v[85:86], off
	s_waitcnt vmcnt(0)
	v_lshlrev_b32_e32 v85, 16, v85
.LBB29_18:                              ;   in Loop: Header=BB29_6 Depth=2
	;; [unrolled: 24-line block ×12, first 2 shown]
	s_or_b32 exec_lo, exec_lo, s3
	global_load_u16 v126, v[0:1], off offset:52
	s_and_saveexec_b32 s3, s1
	s_cbranch_execz .LBB29_5
; %bb.59:                               ;   in Loop: Header=BB29_6 Depth=2
	v_add_co_u32 v73, vcc_lo, v73, v58
	v_add_co_ci_u32_e32 v74, vcc_lo, v74, v59, vcc_lo
	global_load_u16 v73, v[73:74], off
	s_waitcnt vmcnt(0)
	v_lshlrev_b32_e32 v123, 16, v73
	s_branch .LBB29_5
.LBB29_60:
	s_nop 0
	s_sendmsg sendmsg(MSG_DEALLOC_VGPRS)
	s_endpgm
	.section	.rodata,"a",@progbits
	.p2align	6, 0x0
	.amdhsa_kernel _ZN2at6native12_GLOBAL__N_143conv_depthwise3d_cuda_backward_input_kernelIN3c108BFloat16EfLi3ELi3ELi3ELin1ELin1ELin1ELi1ELi1ELi1EEEvN5torch10headeronly6detail27GenericPackedTensorAccessorINS7_14TensorAccessorINS3_8ArrayRefIlEEKT_Lm4ENS6_16DefaultPtrTraitsEiEENS_6detail16IndexBoundsCheckILm5EiEESD_Lm5ESE_iEENS8_INS9_ISB_SC_Lm4ESE_iEESI_SC_Lm5ESE_iEESJ_iiiiiiiii
		.amdhsa_group_segment_fixed_size 0
		.amdhsa_private_segment_fixed_size 0
		.amdhsa_kernarg_size 440
		.amdhsa_user_sgpr_count 15
		.amdhsa_user_sgpr_dispatch_ptr 0
		.amdhsa_user_sgpr_queue_ptr 0
		.amdhsa_user_sgpr_kernarg_segment_ptr 1
		.amdhsa_user_sgpr_dispatch_id 0
		.amdhsa_user_sgpr_private_segment_size 0
		.amdhsa_wavefront_size32 1
		.amdhsa_uses_dynamic_stack 0
		.amdhsa_enable_private_segment 0
		.amdhsa_system_sgpr_workgroup_id_x 1
		.amdhsa_system_sgpr_workgroup_id_y 0
		.amdhsa_system_sgpr_workgroup_id_z 0
		.amdhsa_system_sgpr_workgroup_info 0
		.amdhsa_system_vgpr_workitem_id 0
		.amdhsa_next_free_vgpr 127
		.amdhsa_next_free_sgpr 76
		.amdhsa_reserve_vcc 1
		.amdhsa_float_round_mode_32 0
		.amdhsa_float_round_mode_16_64 0
		.amdhsa_float_denorm_mode_32 3
		.amdhsa_float_denorm_mode_16_64 3
		.amdhsa_dx10_clamp 1
		.amdhsa_ieee_mode 1
		.amdhsa_fp16_overflow 0
		.amdhsa_workgroup_processor_mode 1
		.amdhsa_memory_ordered 1
		.amdhsa_forward_progress 0
		.amdhsa_shared_vgpr_count 0
		.amdhsa_exception_fp_ieee_invalid_op 0
		.amdhsa_exception_fp_denorm_src 0
		.amdhsa_exception_fp_ieee_div_zero 0
		.amdhsa_exception_fp_ieee_overflow 0
		.amdhsa_exception_fp_ieee_underflow 0
		.amdhsa_exception_fp_ieee_inexact 0
		.amdhsa_exception_int_div_zero 0
	.end_amdhsa_kernel
	.section	.text._ZN2at6native12_GLOBAL__N_143conv_depthwise3d_cuda_backward_input_kernelIN3c108BFloat16EfLi3ELi3ELi3ELin1ELin1ELin1ELi1ELi1ELi1EEEvN5torch10headeronly6detail27GenericPackedTensorAccessorINS7_14TensorAccessorINS3_8ArrayRefIlEEKT_Lm4ENS6_16DefaultPtrTraitsEiEENS_6detail16IndexBoundsCheckILm5EiEESD_Lm5ESE_iEENS8_INS9_ISB_SC_Lm4ESE_iEESI_SC_Lm5ESE_iEESJ_iiiiiiiii,"axG",@progbits,_ZN2at6native12_GLOBAL__N_143conv_depthwise3d_cuda_backward_input_kernelIN3c108BFloat16EfLi3ELi3ELi3ELin1ELin1ELin1ELi1ELi1ELi1EEEvN5torch10headeronly6detail27GenericPackedTensorAccessorINS7_14TensorAccessorINS3_8ArrayRefIlEEKT_Lm4ENS6_16DefaultPtrTraitsEiEENS_6detail16IndexBoundsCheckILm5EiEESD_Lm5ESE_iEENS8_INS9_ISB_SC_Lm4ESE_iEESI_SC_Lm5ESE_iEESJ_iiiiiiiii,comdat
.Lfunc_end29:
	.size	_ZN2at6native12_GLOBAL__N_143conv_depthwise3d_cuda_backward_input_kernelIN3c108BFloat16EfLi3ELi3ELi3ELin1ELin1ELin1ELi1ELi1ELi1EEEvN5torch10headeronly6detail27GenericPackedTensorAccessorINS7_14TensorAccessorINS3_8ArrayRefIlEEKT_Lm4ENS6_16DefaultPtrTraitsEiEENS_6detail16IndexBoundsCheckILm5EiEESD_Lm5ESE_iEENS8_INS9_ISB_SC_Lm4ESE_iEESI_SC_Lm5ESE_iEESJ_iiiiiiiii, .Lfunc_end29-_ZN2at6native12_GLOBAL__N_143conv_depthwise3d_cuda_backward_input_kernelIN3c108BFloat16EfLi3ELi3ELi3ELin1ELin1ELin1ELi1ELi1ELi1EEEvN5torch10headeronly6detail27GenericPackedTensorAccessorINS7_14TensorAccessorINS3_8ArrayRefIlEEKT_Lm4ENS6_16DefaultPtrTraitsEiEENS_6detail16IndexBoundsCheckILm5EiEESD_Lm5ESE_iEENS8_INS9_ISB_SC_Lm4ESE_iEESI_SC_Lm5ESE_iEESJ_iiiiiiiii
                                        ; -- End function
	.section	.AMDGPU.csdata,"",@progbits
; Kernel info:
; codeLenInByte = 4632
; NumSgprs: 78
; NumVgprs: 127
; ScratchSize: 0
; MemoryBound: 0
; FloatMode: 240
; IeeeMode: 1
; LDSByteSize: 0 bytes/workgroup (compile time only)
; SGPRBlocks: 9
; VGPRBlocks: 15
; NumSGPRsForWavesPerEU: 78
; NumVGPRsForWavesPerEU: 127
; Occupancy: 10
; WaveLimiterHint : 0
; COMPUTE_PGM_RSRC2:SCRATCH_EN: 0
; COMPUTE_PGM_RSRC2:USER_SGPR: 15
; COMPUTE_PGM_RSRC2:TRAP_HANDLER: 0
; COMPUTE_PGM_RSRC2:TGID_X_EN: 1
; COMPUTE_PGM_RSRC2:TGID_Y_EN: 0
; COMPUTE_PGM_RSRC2:TGID_Z_EN: 0
; COMPUTE_PGM_RSRC2:TIDIG_COMP_CNT: 0
	.section	.text._ZN2at6native12_GLOBAL__N_143conv_depthwise3d_cuda_backward_input_kernelIN3c108BFloat16EfLi3ELi3ELi3ELin1ELin1ELin1ELin1ELin1ELin1EEEvN5torch10headeronly6detail27GenericPackedTensorAccessorINS7_14TensorAccessorINS3_8ArrayRefIlEEKT_Lm4ENS6_16DefaultPtrTraitsEiEENS_6detail16IndexBoundsCheckILm5EiEESD_Lm5ESE_iEENS8_INS9_ISB_SC_Lm4ESE_iEESI_SC_Lm5ESE_iEESJ_iiiiiiiii,"axG",@progbits,_ZN2at6native12_GLOBAL__N_143conv_depthwise3d_cuda_backward_input_kernelIN3c108BFloat16EfLi3ELi3ELi3ELin1ELin1ELin1ELin1ELin1ELin1EEEvN5torch10headeronly6detail27GenericPackedTensorAccessorINS7_14TensorAccessorINS3_8ArrayRefIlEEKT_Lm4ENS6_16DefaultPtrTraitsEiEENS_6detail16IndexBoundsCheckILm5EiEESD_Lm5ESE_iEENS8_INS9_ISB_SC_Lm4ESE_iEESI_SC_Lm5ESE_iEESJ_iiiiiiiii,comdat
	.globl	_ZN2at6native12_GLOBAL__N_143conv_depthwise3d_cuda_backward_input_kernelIN3c108BFloat16EfLi3ELi3ELi3ELin1ELin1ELin1ELin1ELin1ELin1EEEvN5torch10headeronly6detail27GenericPackedTensorAccessorINS7_14TensorAccessorINS3_8ArrayRefIlEEKT_Lm4ENS6_16DefaultPtrTraitsEiEENS_6detail16IndexBoundsCheckILm5EiEESD_Lm5ESE_iEENS8_INS9_ISB_SC_Lm4ESE_iEESI_SC_Lm5ESE_iEESJ_iiiiiiiii ; -- Begin function _ZN2at6native12_GLOBAL__N_143conv_depthwise3d_cuda_backward_input_kernelIN3c108BFloat16EfLi3ELi3ELi3ELin1ELin1ELin1ELin1ELin1ELin1EEEvN5torch10headeronly6detail27GenericPackedTensorAccessorINS7_14TensorAccessorINS3_8ArrayRefIlEEKT_Lm4ENS6_16DefaultPtrTraitsEiEENS_6detail16IndexBoundsCheckILm5EiEESD_Lm5ESE_iEENS8_INS9_ISB_SC_Lm4ESE_iEESI_SC_Lm5ESE_iEESJ_iiiiiiiii
	.p2align	8
	.type	_ZN2at6native12_GLOBAL__N_143conv_depthwise3d_cuda_backward_input_kernelIN3c108BFloat16EfLi3ELi3ELi3ELin1ELin1ELin1ELin1ELin1ELin1EEEvN5torch10headeronly6detail27GenericPackedTensorAccessorINS7_14TensorAccessorINS3_8ArrayRefIlEEKT_Lm4ENS6_16DefaultPtrTraitsEiEENS_6detail16IndexBoundsCheckILm5EiEESD_Lm5ESE_iEENS8_INS9_ISB_SC_Lm4ESE_iEESI_SC_Lm5ESE_iEESJ_iiiiiiiii,@function
_ZN2at6native12_GLOBAL__N_143conv_depthwise3d_cuda_backward_input_kernelIN3c108BFloat16EfLi3ELi3ELi3ELin1ELin1ELin1ELin1ELin1ELin1EEEvN5torch10headeronly6detail27GenericPackedTensorAccessorINS7_14TensorAccessorINS3_8ArrayRefIlEEKT_Lm4ENS6_16DefaultPtrTraitsEiEENS_6detail16IndexBoundsCheckILm5EiEESD_Lm5ESE_iEENS8_INS9_ISB_SC_Lm4ESE_iEESI_SC_Lm5ESE_iEESJ_iiiiiiiii: ; @_ZN2at6native12_GLOBAL__N_143conv_depthwise3d_cuda_backward_input_kernelIN3c108BFloat16EfLi3ELi3ELi3ELin1ELin1ELin1ELin1ELin1ELin1EEEvN5torch10headeronly6detail27GenericPackedTensorAccessorINS7_14TensorAccessorINS3_8ArrayRefIlEEKT_Lm4ENS6_16DefaultPtrTraitsEiEENS_6detail16IndexBoundsCheckILm5EiEESD_Lm5ESE_iEENS8_INS9_ISB_SC_Lm4ESE_iEESI_SC_Lm5ESE_iEESJ_iiiiiiiii
; %bb.0:
	s_clause 0x2
	s_load_b128 s[44:47], s[0:1], 0x38
	s_load_b32 s4, s[0:1], 0xc4
	s_load_b64 s[92:93], s[0:1], 0x48
	s_mov_b32 s6, exec_lo
	s_waitcnt lgkmcnt(0)
	s_abs_i32 s76, s45
	s_add_u32 s2, s0, 0xb8
	v_cvt_f32_u32_e32 v1, s76
	s_addc_u32 s3, s1, 0
	s_and_b32 s4, s4, 0xffff
	s_mul_i32 s94, s93, s44
	s_delay_alu instid0(SALU_CYCLE_1) | instskip(SKIP_3) | instid1(VALU_DEP_1)
	s_ashr_i32 s95, s94, 31
	v_rcp_iflag_f32_e32 v2, v1
	s_waitcnt_depctr 0xfff
	v_dual_mov_b32 v1, 0 :: v_dual_mul_f32 v4, 0x4f7ffffe, v2
	v_mad_u64_u32 v[2:3], null, s4, s15, v[0:1]
	s_delay_alu instid0(VALU_DEP_2) | instskip(NEXT) | instid1(VALU_DEP_1)
	v_cvt_u32_f32_e32 v0, v4
	v_readfirstlane_b32 s5, v0
	s_delay_alu instid0(VALU_DEP_3)
	v_cmpx_gt_i64_e64 s[94:95], v[2:3]
	s_cbranch_execz .LBB30_60
; %bb.1:
	s_clause 0x2
	s_load_b32 s7, s[0:1], 0x7c
	s_load_b128 s[56:59], s[0:1], 0xc
	s_load_b64 s[8:9], s[0:1], 0x0
                                        ; implicit-def: $vgpr130 : SGPR spill to VGPR lane
	s_sub_i32 s6, 0, s76
	s_clause 0x1
	s_load_b256 s[48:55], s[0:1], 0x90
	s_load_b32 s10, s[0:1], 0xb0
	s_load_b32 s2, s[2:3], 0x0
	s_mul_i32 s3, s6, s5
	s_clause 0x1
	s_load_b64 s[12:13], s[0:1], 0x60
	s_load_b128 s[60:63], s[0:1], 0x50
	s_mul_hi_u32 s3, s5, s3
	s_ashr_i32 s44, s45, 31
	s_add_i32 s5, s5, s3
	s_clause 0x1
	s_load_b64 s[70:71], s[0:1], 0x1c
	s_load_b64 s[42:43], s[0:1], 0x30
	v_mul_lo_u32 v12, s6, v0
	s_mov_b32 s78, 0
	s_waitcnt lgkmcnt(0)
	v_writelane_b32 v130, s7, 0
	s_abs_i32 s3, s56
	s_ashr_i32 s7, s56, 31
	s_mul_hi_u32 s5, s3, s5
	s_xor_b32 s7, s7, s44
	v_writelane_b32 v130, s8, 1
	s_mul_i32 s40, s2, s4
	v_writelane_b32 v130, s9, 2
	s_mul_i32 s8, s5, s76
	s_delay_alu instid0(SALU_CYCLE_1)
	s_sub_i32 s3, s3, s8
	s_add_i32 s8, s5, 1
	s_sub_i32 s9, s3, s76
	s_cmp_ge_u32 s3, s76
	v_writelane_b32 v130, s12, 3
	s_cselect_b32 s0, s8, s5
	s_cselect_b32 s1, s9, s3
	s_add_i32 s3, s0, 1
	s_cmp_ge_u32 s1, s76
	v_writelane_b32 v130, s13, 4
	s_cselect_b32 s0, s3, s0
	s_abs_i32 s85, s92
	s_abs_i32 s86, s47
	v_cvt_f32_u32_e32 v1, s85
	s_abs_i32 s87, s46
	s_abs_i32 s88, s48
	v_cvt_f32_u32_e32 v4, s86
	s_abs_i32 s89, s49
	v_rcp_iflag_f32_e32 v1, v1
	s_abs_i32 s90, s50
	v_cvt_f32_u32_e32 v5, s87
	v_cvt_f32_u32_e32 v6, s88
	v_writelane_b32 v130, s10, 5
	v_cvt_f32_u32_e32 v7, s89
	v_cvt_f32_u32_e32 v8, s90
	v_rcp_iflag_f32_e32 v4, v4
	s_lshl_b32 s1, s10, 1
	v_rcp_iflag_f32_e32 v5, v5
	v_rcp_iflag_f32_e32 v6, v6
	v_writelane_b32 v130, s1, 6
	v_rcp_iflag_f32_e32 v7, v7
	v_rcp_iflag_f32_e32 v8, v8
	v_mul_f32_e32 v1, 0x4f7ffffe, v1
	s_lshl_b32 s1, s55, 1
	s_xor_b32 s0, s0, s7
	v_mul_f32_e32 v4, 0x4f7ffffe, v4
	v_writelane_b32 v130, s1, 7
	v_cvt_u32_f32_e32 v1, v1
	s_lshl_b32 s1, s54, 1
	v_dual_mul_f32 v5, 0x4f7ffffe, v5 :: v_dual_mul_f32 v6, 0x4f7ffffe, v6
	v_writelane_b32 v130, s1, 8
	s_sub_i32 s1, 0, s85
	v_dual_mul_f32 v7, 0x4f7ffffe, v7 :: v_dual_mul_f32 v8, 0x4f7ffffe, v8
	v_mul_lo_u32 v9, s1, v1
	v_cvt_u32_f32_e32 v6, v6
	v_cvt_u32_f32_e32 v4, v4
	;; [unrolled: 1-line block ×5, first 2 shown]
	s_sub_i32 s91, s0, s7
	s_sub_i32 s0, 0, s88
	;; [unrolled: 1-line block ×4, first 2 shown]
	v_mul_lo_u32 v13, s0, v6
	s_sub_i32 s0, 0, s89
	s_sub_i32 s1, 0, s90
	v_mul_lo_u32 v10, s2, v4
	v_mul_lo_u32 v11, s3, v5
	v_mul_hi_u32 v9, v1, v9
	v_mul_lo_u32 v14, s0, v7
	v_mul_lo_u32 v15, s1, v8
	s_ashr_i32 s0, s48, 31
	s_ashr_i32 s77, s92, 31
	v_writelane_b32 v130, s0, 9
	v_mul_hi_u32 v10, v4, v10
	s_ashr_i32 s84, s47, 31
	v_add_nc_u32_e32 v60, v1, v9
	v_mul_hi_u32 v1, v5, v11
	v_mul_hi_u32 v9, v0, v12
	;; [unrolled: 1-line block ×5, first 2 shown]
	v_add_nc_u32_e32 v61, v4, v10
	s_ashr_i32 s73, s46, 31
	s_ashr_i32 s0, s49, 31
	v_add_nc_u32_e32 v62, v5, v1
	v_add_nc_u32_e32 v63, v0, v9
	;; [unrolled: 1-line block ×5, first 2 shown]
	s_ashr_i32 s96, s50, 31
	v_writelane_b32 v130, s0, 10
	s_branch .LBB30_3
.LBB30_2:                               ;   in Loop: Header=BB30_3 Depth=1
	s_or_b32 exec_lo, exec_lo, s98
	v_mul_lo_u32 v0, v71, s93
	v_mul_lo_u32 v4, s60, v69
	v_bfe_u32 v5, v74, 16, 1
	v_mul_lo_u32 v6, s61, v70
	v_mul_lo_u32 v8, s62, v68
	;; [unrolled: 1-line block ×3, first 2 shown]
	s_delay_alu instid0(VALU_DEP_4) | instskip(SKIP_3) | instid1(VALU_DEP_4)
	v_add3_u32 v12, v74, v5, 0x7fff
	v_ashrrev_i32_e32 v1, 31, v0
	v_ashrrev_i32_e32 v5, 31, v4
	;; [unrolled: 1-line block ×3, first 2 shown]
	v_lshrrev_b32_e32 v12, 16, v12
	s_delay_alu instid0(VALU_DEP_4) | instskip(NEXT) | instid1(VALU_DEP_4)
	v_lshlrev_b64 v[0:1], 1, v[0:1]
	v_lshlrev_b64 v[4:5], 1, v[4:5]
	v_ashrrev_i32_e32 v9, 31, v8
	v_ashrrev_i32_e32 v11, 31, v10
	s_delay_alu instid0(VALU_DEP_4) | instskip(SKIP_2) | instid1(VALU_DEP_3)
	v_add_co_u32 v13, vcc_lo, s42, v0
	v_add_co_ci_u32_e32 v14, vcc_lo, s43, v1, vcc_lo
	v_lshlrev_b64 v[0:1], 1, v[6:7]
	v_add_co_u32 v4, vcc_lo, v13, v4
	s_delay_alu instid0(VALU_DEP_3) | instskip(SKIP_2) | instid1(VALU_DEP_4)
	v_add_co_ci_u32_e32 v5, vcc_lo, v14, v5, vcc_lo
	v_cmp_o_f32_e32 vcc_lo, v74, v74
	v_cndmask_b32_e32 v6, 0x7fc0, v12, vcc_lo
	v_add_co_u32 v7, vcc_lo, v4, v0
	s_delay_alu instid0(VALU_DEP_4) | instskip(SKIP_4) | instid1(VALU_DEP_4)
	v_add_co_ci_u32_e32 v12, vcc_lo, v5, v1, vcc_lo
	v_lshlrev_b64 v[0:1], 1, v[8:9]
	v_add_co_u32 v2, vcc_lo, v2, s40
	v_lshlrev_b64 v[4:5], 1, v[10:11]
	v_add_co_ci_u32_e32 v3, vcc_lo, 0, v3, vcc_lo
	v_add_co_u32 v0, vcc_lo, v7, v0
	v_add_co_ci_u32_e32 v1, vcc_lo, v12, v1, vcc_lo
	s_delay_alu instid0(VALU_DEP_3) | instskip(NEXT) | instid1(VALU_DEP_3)
	v_cmp_le_i64_e32 vcc_lo, s[94:95], v[2:3]
	v_add_co_u32 v0, s0, v0, v4
	s_delay_alu instid0(VALU_DEP_1)
	v_add_co_ci_u32_e64 v1, s0, v1, v5, s0
	s_or_b32 s78, vcc_lo, s78
	global_store_b16 v[0:1], v6, off
	s_and_not1_b32 exec_lo, exec_lo, s78
	s_cbranch_execz .LBB30_60
.LBB30_3:                               ; =>This Loop Header: Depth=1
                                        ;     Child Loop BB30_6 Depth 2
	v_sub_nc_u32_e32 v0, 0, v2
	v_mov_b32_e32 v74, 0
	s_mov_b32 s98, exec_lo
	s_delay_alu instid0(VALU_DEP_2) | instskip(NEXT) | instid1(VALU_DEP_1)
	v_max_i32_e32 v0, v2, v0
	v_mul_hi_u32 v1, v0, v60
	s_delay_alu instid0(VALU_DEP_1) | instskip(NEXT) | instid1(VALU_DEP_1)
	v_mul_lo_u32 v4, v1, s85
	v_sub_nc_u32_e32 v0, v0, v4
	v_add_nc_u32_e32 v4, 1, v1
	s_delay_alu instid0(VALU_DEP_2) | instskip(SKIP_1) | instid1(VALU_DEP_2)
	v_subrev_nc_u32_e32 v5, s85, v0
	v_cmp_le_u32_e32 vcc_lo, s85, v0
	v_dual_cndmask_b32 v1, v1, v4 :: v_dual_cndmask_b32 v0, v0, v5
	v_ashrrev_i32_e32 v4, 31, v2
	s_delay_alu instid0(VALU_DEP_2) | instskip(NEXT) | instid1(VALU_DEP_3)
	v_add_nc_u32_e32 v5, 1, v1
	v_cmp_le_u32_e32 vcc_lo, s85, v0
	s_delay_alu instid0(VALU_DEP_3) | instskip(NEXT) | instid1(VALU_DEP_3)
	v_xor_b32_e32 v4, s77, v4
	v_cndmask_b32_e32 v0, v1, v5, vcc_lo
	s_delay_alu instid0(VALU_DEP_1) | instskip(NEXT) | instid1(VALU_DEP_1)
	v_xor_b32_e32 v0, v0, v4
	v_sub_nc_u32_e32 v1, v0, v4
	s_delay_alu instid0(VALU_DEP_1) | instskip(NEXT) | instid1(VALU_DEP_1)
	v_sub_nc_u32_e32 v0, 0, v1
	v_max_i32_e32 v0, v1, v0
	s_delay_alu instid0(VALU_DEP_1) | instskip(NEXT) | instid1(VALU_DEP_1)
	v_mul_hi_u32 v4, v0, v61
	v_mul_lo_u32 v5, v4, s86
	s_delay_alu instid0(VALU_DEP_1) | instskip(SKIP_1) | instid1(VALU_DEP_2)
	v_sub_nc_u32_e32 v0, v0, v5
	v_add_nc_u32_e32 v5, 1, v4
	v_subrev_nc_u32_e32 v6, s86, v0
	v_cmp_le_u32_e32 vcc_lo, s86, v0
	s_delay_alu instid0(VALU_DEP_3) | instskip(NEXT) | instid1(VALU_DEP_3)
	v_cndmask_b32_e32 v4, v4, v5, vcc_lo
	v_cndmask_b32_e32 v0, v0, v6, vcc_lo
	v_ashrrev_i32_e32 v5, 31, v1
	s_delay_alu instid0(VALU_DEP_3) | instskip(NEXT) | instid1(VALU_DEP_3)
	v_add_nc_u32_e32 v6, 1, v4
	v_cmp_le_u32_e32 vcc_lo, s86, v0
	s_delay_alu instid0(VALU_DEP_3) | instskip(NEXT) | instid1(VALU_DEP_3)
	v_xor_b32_e32 v5, s84, v5
	v_cndmask_b32_e32 v0, v4, v6, vcc_lo
	s_delay_alu instid0(VALU_DEP_1) | instskip(NEXT) | instid1(VALU_DEP_1)
	v_xor_b32_e32 v0, v0, v5
	v_sub_nc_u32_e32 v4, v0, v5
	s_delay_alu instid0(VALU_DEP_1) | instskip(NEXT) | instid1(VALU_DEP_1)
	v_sub_nc_u32_e32 v0, 0, v4
	v_max_i32_e32 v0, v4, v0
	s_delay_alu instid0(VALU_DEP_1) | instskip(NEXT) | instid1(VALU_DEP_1)
	v_mul_hi_u32 v5, v0, v62
	v_mul_lo_u32 v6, v5, s87
	s_delay_alu instid0(VALU_DEP_1) | instskip(SKIP_1) | instid1(VALU_DEP_2)
	v_sub_nc_u32_e32 v0, v0, v6
	v_add_nc_u32_e32 v6, 1, v5
	v_subrev_nc_u32_e32 v7, s87, v0
	v_cmp_le_u32_e32 vcc_lo, s87, v0
	s_delay_alu instid0(VALU_DEP_2) | instskip(SKIP_1) | instid1(VALU_DEP_2)
	v_dual_cndmask_b32 v5, v5, v6 :: v_dual_cndmask_b32 v0, v0, v7
	v_ashrrev_i32_e32 v6, 31, v4
	v_add_nc_u32_e32 v7, 1, v5
	s_delay_alu instid0(VALU_DEP_3) | instskip(NEXT) | instid1(VALU_DEP_3)
	v_cmp_le_u32_e32 vcc_lo, s87, v0
	v_xor_b32_e32 v6, s73, v6
	s_delay_alu instid0(VALU_DEP_3) | instskip(NEXT) | instid1(VALU_DEP_1)
	v_cndmask_b32_e32 v0, v5, v7, vcc_lo
	v_xor_b32_e32 v0, v0, v6
	s_delay_alu instid0(VALU_DEP_1) | instskip(NEXT) | instid1(VALU_DEP_1)
	v_sub_nc_u32_e32 v5, v0, v6
	v_sub_nc_u32_e32 v0, 0, v5
	s_delay_alu instid0(VALU_DEP_1) | instskip(NEXT) | instid1(VALU_DEP_1)
	v_max_i32_e32 v0, v5, v0
	v_mul_hi_u32 v6, v0, v63
	s_delay_alu instid0(VALU_DEP_1) | instskip(NEXT) | instid1(VALU_DEP_1)
	v_mul_lo_u32 v7, v6, s76
	v_sub_nc_u32_e32 v0, v0, v7
	v_add_nc_u32_e32 v7, 1, v6
	s_delay_alu instid0(VALU_DEP_2) | instskip(SKIP_1) | instid1(VALU_DEP_3)
	v_subrev_nc_u32_e32 v8, s76, v0
	v_cmp_le_u32_e32 vcc_lo, s76, v0
	v_cndmask_b32_e32 v6, v6, v7, vcc_lo
	s_delay_alu instid0(VALU_DEP_3) | instskip(SKIP_1) | instid1(VALU_DEP_3)
	v_cndmask_b32_e32 v0, v0, v8, vcc_lo
	v_ashrrev_i32_e32 v7, 31, v5
	v_add_nc_u32_e32 v8, 1, v6
	s_delay_alu instid0(VALU_DEP_3) | instskip(NEXT) | instid1(VALU_DEP_3)
	v_cmp_le_u32_e32 vcc_lo, s76, v0
	v_xor_b32_e32 v7, s44, v7
	s_delay_alu instid0(VALU_DEP_3) | instskip(SKIP_1) | instid1(VALU_DEP_2)
	v_cndmask_b32_e32 v0, v6, v8, vcc_lo
	v_mul_lo_u32 v6, v1, s92
	v_xor_b32_e32 v0, v0, v7
	s_delay_alu instid0(VALU_DEP_2) | instskip(NEXT) | instid1(VALU_DEP_2)
	v_sub_nc_u32_e32 v67, v2, v6
	v_sub_nc_u32_e32 v71, v0, v7
	v_mul_lo_u32 v7, v4, s47
	s_delay_alu instid0(VALU_DEP_2) | instskip(NEXT) | instid1(VALU_DEP_2)
	v_mul_lo_u32 v0, v71, s45
	v_sub_nc_u32_e32 v68, v1, v7
	s_delay_alu instid0(VALU_DEP_2) | instskip(SKIP_1) | instid1(VALU_DEP_2)
	v_sub_nc_u32_e32 v69, v5, v0
	v_mul_lo_u32 v5, v5, s46
	v_mul_lo_u32 v0, v69, s91
	s_delay_alu instid0(VALU_DEP_2) | instskip(NEXT) | instid1(VALU_DEP_2)
	v_sub_nc_u32_e32 v70, v4, v5
	v_add_nc_u32_e32 v8, s91, v0
	s_delay_alu instid0(VALU_DEP_1)
	v_cmpx_lt_i32_e64 v0, v8
	s_cbranch_execz .LBB30_2
; %bb.4:                                ;   in Loop: Header=BB30_3 Depth=1
	v_add_nc_u32_e32 v5, s53, v67
	v_readlane_b32 s0, v130, 0
	v_readlane_b32 s2, v130, 10
	s_mov_b64 s[64:65], s[42:43]
	s_mov_b32 s66, s73
	v_sub_nc_u32_e32 v1, 0, v5
	v_mul_lo_u32 v0, s0, v0
	v_readlane_b32 s0, v130, 5
	s_mov_b32 s73, s44
	s_mov_b32 s72, s40
	v_max_i32_e32 v1, v5, v1
	s_delay_alu instid0(VALU_DEP_1) | instskip(NEXT) | instid1(VALU_DEP_1)
	v_mul_hi_u32 v4, v1, v66
	v_mul_lo_u32 v6, v4, s90
	s_delay_alu instid0(VALU_DEP_1) | instskip(NEXT) | instid1(VALU_DEP_1)
	v_sub_nc_u32_e32 v1, v1, v6
	v_subrev_nc_u32_e32 v7, s90, v1
	v_cmp_le_u32_e32 vcc_lo, s90, v1
	s_delay_alu instid0(VALU_DEP_2) | instskip(NEXT) | instid1(VALU_DEP_1)
	v_dual_cndmask_b32 v1, v1, v7 :: v_dual_add_nc_u32 v6, 1, v4
	v_cndmask_b32_e32 v4, v4, v6, vcc_lo
	v_ashrrev_i32_e32 v6, 31, v5
	v_subrev_nc_u32_e32 v8, s0, v5
	v_readlane_b32 s0, v130, 6
	v_cmp_le_u32_e32 vcc_lo, s90, v1
	v_add_nc_u32_e32 v7, 1, v4
	v_xor_b32_e32 v6, s96, v6
	s_delay_alu instid0(VALU_DEP_2)
	v_cndmask_b32_e32 v1, v4, v7, vcc_lo
	v_subrev_nc_u32_e32 v7, s0, v5
	v_sub_nc_u32_e32 v4, 0, v8
	v_readlane_b32 s0, v130, 3
	v_readlane_b32 s1, v130, 4
	v_xor_b32_e32 v9, v1, v6
	v_sub_nc_u32_e32 v10, 0, v7
	v_max_i32_e32 v11, v8, v4
	v_ashrrev_i32_e32 v1, 31, v0
	s_delay_alu instid0(VALU_DEP_4) | instskip(NEXT) | instid1(VALU_DEP_4)
	v_sub_nc_u32_e32 v4, v9, v6
	v_max_i32_e32 v6, v7, v10
	s_delay_alu instid0(VALU_DEP_4) | instskip(NEXT) | instid1(VALU_DEP_4)
	v_mul_hi_u32 v9, v11, v66
	v_lshlrev_b64 v[0:1], 1, v[0:1]
	s_delay_alu instid0(VALU_DEP_4) | instskip(NEXT) | instid1(VALU_DEP_4)
	v_mul_lo_u32 v10, v4, s50
	v_mul_hi_u32 v12, v6, v66
	v_cmp_gt_i32_e64 s42, s59, v4
	s_delay_alu instid0(VALU_DEP_4)
	v_add_co_u32 v0, vcc_lo, s0, v0
	v_mul_lo_u32 v13, v9, s90
	v_add_co_ci_u32_e32 v1, vcc_lo, s1, v1, vcc_lo
	v_cmp_eq_u32_e64 s0, v10, v5
	v_add_nc_u32_e32 v10, s52, v68
	v_mul_lo_u32 v5, v12, s90
	v_readlane_b32 s1, v130, 7
	v_sub_nc_u32_e32 v11, v11, v13
	s_delay_alu instid0(VALU_DEP_4) | instskip(NEXT) | instid1(VALU_DEP_4)
	v_subrev_nc_u32_e32 v13, s55, v10
	v_sub_nc_u32_e32 v5, v6, v5
	s_delay_alu instid0(VALU_DEP_2) | instskip(NEXT) | instid1(VALU_DEP_4)
	v_sub_nc_u32_e32 v6, 0, v13
	v_cmp_le_u32_e32 vcc_lo, s90, v11
	s_delay_alu instid0(VALU_DEP_2) | instskip(NEXT) | instid1(VALU_DEP_1)
	v_max_i32_e32 v6, v13, v6
	v_mul_hi_u32 v14, v6, v65
	s_delay_alu instid0(VALU_DEP_1) | instskip(NEXT) | instid1(VALU_DEP_1)
	v_mul_lo_u32 v15, v14, s89
	v_sub_nc_u32_e32 v6, v6, v15
	v_subrev_nc_u32_e32 v15, s90, v11
	s_delay_alu instid0(VALU_DEP_1) | instskip(SKIP_1) | instid1(VALU_DEP_1)
	v_cndmask_b32_e32 v11, v11, v15, vcc_lo
	v_add_nc_u32_e32 v15, 1, v9
	v_cndmask_b32_e32 v9, v9, v15, vcc_lo
	v_subrev_nc_u32_e32 v15, s90, v5
	v_cmp_le_u32_e32 vcc_lo, s90, v5
	s_delay_alu instid0(VALU_DEP_2) | instskip(SKIP_1) | instid1(VALU_DEP_1)
	v_cndmask_b32_e32 v5, v5, v15, vcc_lo
	v_add_nc_u32_e32 v15, 1, v12
	v_cndmask_b32_e32 v12, v12, v15, vcc_lo
	v_subrev_nc_u32_e32 v15, s89, v6
	v_cmp_le_u32_e32 vcc_lo, s89, v6
	s_delay_alu instid0(VALU_DEP_2) | instskip(NEXT) | instid1(VALU_DEP_1)
	v_dual_cndmask_b32 v15, v6, v15 :: v_dual_add_nc_u32 v6, 1, v14
	v_cndmask_b32_e32 v14, v14, v6, vcc_lo
	v_add_nc_u32_e32 v6, 1, v9
	v_cmp_le_u32_e32 vcc_lo, s90, v11
	v_sub_nc_u32_e32 v11, 0, v10
	s_delay_alu instid0(VALU_DEP_3) | instskip(SKIP_4) | instid1(VALU_DEP_3)
	v_cndmask_b32_e32 v6, v9, v6, vcc_lo
	v_cmp_le_u32_e32 vcc_lo, s90, v5
	v_ashrrev_i32_e32 v5, 31, v8
	v_add_nc_u32_e32 v9, 1, v12
	v_max_i32_e32 v11, v10, v11
	v_xor_b32_e32 v5, s96, v5
	s_delay_alu instid0(VALU_DEP_3) | instskip(SKIP_2) | instid1(VALU_DEP_4)
	v_cndmask_b32_e32 v9, v12, v9, vcc_lo
	v_cmp_le_u32_e32 vcc_lo, s89, v15
	v_ashrrev_i32_e32 v12, 31, v13
	v_xor_b32_e32 v6, v6, v5
	s_delay_alu instid0(VALU_DEP_2) | instskip(NEXT) | instid1(VALU_DEP_2)
	v_xor_b32_e32 v12, s2, v12
	v_sub_nc_u32_e32 v5, v6, v5
	v_ashrrev_i32_e32 v6, 31, v7
	s_delay_alu instid0(VALU_DEP_2) | instskip(NEXT) | instid1(VALU_DEP_2)
	v_cmp_gt_i32_e64 s43, s59, v5
	v_xor_b32_e32 v6, s96, v6
	s_delay_alu instid0(VALU_DEP_1) | instskip(NEXT) | instid1(VALU_DEP_1)
	v_xor_b32_e32 v9, v9, v6
	v_sub_nc_u32_e32 v6, v9, v6
	v_mul_lo_u32 v9, v5, s50
	s_delay_alu instid0(VALU_DEP_1) | instskip(NEXT) | instid1(VALU_DEP_3)
	v_cmp_eq_u32_e64 s14, v9, v8
	v_mul_lo_u32 v9, v6, s50
	v_add_nc_u32_e32 v8, 1, v14
	s_delay_alu instid0(VALU_DEP_1) | instskip(NEXT) | instid1(VALU_DEP_3)
	v_cndmask_b32_e32 v8, v14, v8, vcc_lo
	v_cmp_eq_u32_e64 s11, v9, v7
	v_mul_hi_u32 v9, v11, v65
	s_delay_alu instid0(VALU_DEP_3) | instskip(NEXT) | instid1(VALU_DEP_1)
	v_xor_b32_e32 v7, v8, v12
	v_sub_nc_u32_e32 v7, v7, v12
	s_delay_alu instid0(VALU_DEP_3) | instskip(NEXT) | instid1(VALU_DEP_2)
	v_mul_lo_u32 v8, v9, s89
	v_mul_lo_u32 v12, v7, s49
	v_cmp_gt_i32_e64 s34, s58, v7
	s_delay_alu instid0(VALU_DEP_3) | instskip(SKIP_3) | instid1(VALU_DEP_4)
	v_sub_nc_u32_e32 v8, v11, v8
	v_subrev_nc_u32_e32 v11, s1, v10
	v_readlane_b32 s1, v130, 8
	v_cmp_eq_u32_e64 s23, v12, v13
	v_subrev_nc_u32_e32 v12, s89, v8
	s_delay_alu instid0(VALU_DEP_4) | instskip(SKIP_1) | instid1(VALU_DEP_2)
	v_sub_nc_u32_e32 v13, 0, v11
	v_cmp_le_u32_e32 vcc_lo, s89, v8
	v_max_i32_e32 v13, v11, v13
	s_delay_alu instid0(VALU_DEP_4) | instskip(SKIP_1) | instid1(VALU_DEP_1)
	v_cndmask_b32_e32 v8, v8, v12, vcc_lo
	v_add_nc_u32_e32 v12, 1, v9
	v_cndmask_b32_e32 v9, v9, v12, vcc_lo
	s_delay_alu instid0(VALU_DEP_4) | instskip(NEXT) | instid1(VALU_DEP_4)
	v_mul_hi_u32 v12, v13, v65
	v_cmp_le_u32_e32 vcc_lo, s89, v8
	s_delay_alu instid0(VALU_DEP_2) | instskip(NEXT) | instid1(VALU_DEP_1)
	v_mul_lo_u32 v14, v12, s89
	v_sub_nc_u32_e32 v13, v13, v14
	v_add_nc_u32_e32 v14, 1, v9
	s_delay_alu instid0(VALU_DEP_1) | instskip(NEXT) | instid1(VALU_DEP_3)
	v_cndmask_b32_e32 v8, v9, v14, vcc_lo
	v_subrev_nc_u32_e32 v9, s89, v13
	v_cmp_le_u32_e32 vcc_lo, s89, v13
	s_delay_alu instid0(VALU_DEP_2) | instskip(SKIP_1) | instid1(VALU_DEP_1)
	v_cndmask_b32_e32 v13, v13, v9, vcc_lo
	v_add_nc_u32_e32 v9, 1, v12
	v_cndmask_b32_e32 v12, v12, v9, vcc_lo
	v_ashrrev_i32_e32 v9, 31, v10
	s_delay_alu instid0(VALU_DEP_1) | instskip(NEXT) | instid1(VALU_DEP_1)
	v_xor_b32_e32 v9, s2, v9
	v_xor_b32_e32 v8, v8, v9
	s_delay_alu instid0(VALU_DEP_1) | instskip(SKIP_3) | instid1(VALU_DEP_4)
	v_sub_nc_u32_e32 v9, v8, v9
	v_add_nc_u32_e32 v8, 1, v12
	v_cmp_le_u32_e32 vcc_lo, s89, v13
	v_ashrrev_i32_e32 v13, 31, v11
	v_cmp_gt_i32_e64 s37, s58, v9
	s_delay_alu instid0(VALU_DEP_4) | instskip(NEXT) | instid1(VALU_DEP_3)
	v_cndmask_b32_e32 v8, v12, v8, vcc_lo
	v_xor_b32_e32 v12, s2, v13
	v_mul_lo_u32 v13, v9, s49
	v_readlane_b32 s2, v130, 9
	s_and_b32 s81, s43, s37
	s_and_b32 s75, s42, s37
	v_xor_b32_e32 v8, v8, v12
	s_delay_alu instid0(VALU_DEP_3) | instskip(NEXT) | instid1(VALU_DEP_2)
	v_cmp_eq_u32_e64 s20, v13, v10
	v_sub_nc_u32_e32 v8, v8, v12
	v_add_nc_u32_e32 v12, s51, v70
	s_delay_alu instid0(VALU_DEP_2) | instskip(NEXT) | instid1(VALU_DEP_2)
	v_mul_lo_u32 v10, v8, s49
	v_subrev_nc_u32_e32 v13, s54, v12
	v_cmp_gt_i32_e64 s29, s58, v8
	s_delay_alu instid0(VALU_DEP_3) | instskip(NEXT) | instid1(VALU_DEP_3)
	v_cmp_eq_u32_e64 s26, v10, v11
	v_sub_nc_u32_e32 v10, 0, v13
	s_delay_alu instid0(VALU_DEP_1) | instskip(NEXT) | instid1(VALU_DEP_1)
	v_max_i32_e32 v10, v13, v10
	v_mul_hi_u32 v11, v10, v64
	s_delay_alu instid0(VALU_DEP_1) | instskip(NEXT) | instid1(VALU_DEP_1)
	v_mul_lo_u32 v14, v11, s88
	v_sub_nc_u32_e32 v10, v10, v14
	s_delay_alu instid0(VALU_DEP_1) | instskip(SKIP_1) | instid1(VALU_DEP_2)
	v_subrev_nc_u32_e32 v14, s88, v10
	v_cmp_le_u32_e32 vcc_lo, s88, v10
	v_cndmask_b32_e32 v10, v10, v14, vcc_lo
	v_add_nc_u32_e32 v14, 1, v11
	s_delay_alu instid0(VALU_DEP_1) | instskip(NEXT) | instid1(VALU_DEP_3)
	v_cndmask_b32_e32 v11, v11, v14, vcc_lo
	v_cmp_le_u32_e32 vcc_lo, s88, v10
	s_delay_alu instid0(VALU_DEP_2) | instskip(NEXT) | instid1(VALU_DEP_1)
	v_add_nc_u32_e32 v14, 1, v11
	v_cndmask_b32_e32 v10, v11, v14, vcc_lo
	v_ashrrev_i32_e32 v11, 31, v13
	s_delay_alu instid0(VALU_DEP_1) | instskip(NEXT) | instid1(VALU_DEP_1)
	v_xor_b32_e32 v11, s2, v11
	v_xor_b32_e32 v10, v10, v11
	s_delay_alu instid0(VALU_DEP_1) | instskip(NEXT) | instid1(VALU_DEP_1)
	v_sub_nc_u32_e32 v10, v10, v11
	v_mul_lo_u32 v11, v10, s48
	v_cmp_gt_i32_e64 s38, s57, v10
	s_delay_alu instid0(VALU_DEP_2) | instskip(SKIP_1) | instid1(VALU_DEP_2)
	v_cmp_eq_u32_e64 s17, v11, v13
	v_sub_nc_u32_e32 v11, 0, v12
	s_and_b32 s69, s17, s23
	s_delay_alu instid0(VALU_DEP_1) | instskip(SKIP_1) | instid1(VALU_DEP_1)
	v_max_i32_e32 v11, v12, v11
	s_and_b32 s83, s17, s26
	v_mul_hi_u32 v13, v11, v64
	s_delay_alu instid0(VALU_DEP_1) | instskip(NEXT) | instid1(VALU_DEP_1)
	v_mul_lo_u32 v14, v13, s88
	v_sub_nc_u32_e32 v11, v11, v14
	s_delay_alu instid0(VALU_DEP_1) | instskip(SKIP_1) | instid1(VALU_DEP_2)
	v_subrev_nc_u32_e32 v14, s88, v11
	v_cmp_le_u32_e32 vcc_lo, s88, v11
	v_dual_cndmask_b32 v11, v11, v14 :: v_dual_add_nc_u32 v14, 1, v13
	s_delay_alu instid0(VALU_DEP_1) | instskip(NEXT) | instid1(VALU_DEP_2)
	v_cndmask_b32_e32 v13, v13, v14, vcc_lo
	v_cmp_le_u32_e32 vcc_lo, s88, v11
	s_delay_alu instid0(VALU_DEP_2) | instskip(NEXT) | instid1(VALU_DEP_1)
	v_add_nc_u32_e32 v14, 1, v13
	v_cndmask_b32_e32 v11, v13, v14, vcc_lo
	v_ashrrev_i32_e32 v13, 31, v12
	s_delay_alu instid0(VALU_DEP_1) | instskip(NEXT) | instid1(VALU_DEP_1)
	v_xor_b32_e32 v13, s2, v13
	v_xor_b32_e32 v11, v11, v13
	s_delay_alu instid0(VALU_DEP_1) | instskip(NEXT) | instid1(VALU_DEP_1)
	v_sub_nc_u32_e32 v13, v11, v13
	v_mul_lo_u32 v11, v13, s48
	v_cmp_gt_i32_e64 s36, s57, v13
	s_delay_alu instid0(VALU_DEP_2) | instskip(SKIP_1) | instid1(VALU_DEP_2)
	v_cmp_eq_u32_e64 s6, v11, v12
	v_subrev_nc_u32_e32 v11, s1, v12
	s_and_b32 s56, s6, s20
	s_delay_alu instid0(VALU_DEP_1) | instskip(NEXT) | instid1(VALU_DEP_1)
	v_sub_nc_u32_e32 v12, 0, v11
	v_max_i32_e32 v12, v11, v12
	s_delay_alu instid0(VALU_DEP_1) | instskip(NEXT) | instid1(VALU_DEP_1)
	v_mul_hi_u32 v14, v12, v64
	v_mul_lo_u32 v15, v14, s88
	s_delay_alu instid0(VALU_DEP_1) | instskip(NEXT) | instid1(VALU_DEP_1)
	v_sub_nc_u32_e32 v12, v12, v15
	v_subrev_nc_u32_e32 v15, s88, v12
	v_cmp_le_u32_e32 vcc_lo, s88, v12
	s_delay_alu instid0(VALU_DEP_2) | instskip(NEXT) | instid1(VALU_DEP_1)
	v_dual_cndmask_b32 v12, v12, v15 :: v_dual_add_nc_u32 v15, 1, v14
	v_cndmask_b32_e32 v14, v14, v15, vcc_lo
	s_delay_alu instid0(VALU_DEP_2) | instskip(NEXT) | instid1(VALU_DEP_2)
	v_cmp_le_u32_e32 vcc_lo, s88, v12
	v_add_nc_u32_e32 v15, 1, v14
	s_delay_alu instid0(VALU_DEP_1) | instskip(SKIP_1) | instid1(VALU_DEP_1)
	v_cndmask_b32_e32 v12, v14, v15, vcc_lo
	v_ashrrev_i32_e32 v14, 31, v11
	v_xor_b32_e32 v14, s2, v14
	v_readlane_b32 s2, v130, 1
	v_readlane_b32 s3, v130, 2
	s_delay_alu instid0(VALU_DEP_3) | instskip(NEXT) | instid1(VALU_DEP_1)
	v_xor_b32_e32 v12, v12, v14
	v_sub_nc_u32_e32 v14, v12, v14
	s_delay_alu instid0(VALU_DEP_1) | instskip(SKIP_1) | instid1(VALU_DEP_2)
	v_mul_lo_u32 v12, v14, s48
	v_cmp_gt_i32_e64 s28, s57, v14
	v_cmp_eq_u32_e64 s27, v12, v11
	v_mul_lo_u32 v11, s70, v71
	s_delay_alu instid0(VALU_DEP_1) | instskip(NEXT) | instid1(VALU_DEP_1)
	v_ashrrev_i32_e32 v12, 31, v11
	v_lshlrev_b64 v[11:12], 1, v[11:12]
	s_delay_alu instid0(VALU_DEP_1) | instskip(SKIP_1) | instid1(VALU_DEP_3)
	v_add_co_u32 v72, vcc_lo, s2, v11
	v_or_b32_e32 v11, v4, v9
	v_add_co_ci_u32_e32 v73, vcc_lo, s3, v12, vcc_lo
	s_delay_alu instid0(VALU_DEP_2) | instskip(NEXT) | instid1(VALU_DEP_1)
	v_or_b32_e32 v12, v11, v13
	v_cmp_lt_i32_e32 vcc_lo, -1, v12
	v_or_b32_e32 v12, v5, v9
	s_and_b32 s44, s42, vcc_lo
	s_delay_alu instid0(VALU_DEP_1)
	v_or_b32_e32 v15, v12, v13
	s_and_b32 s44, s44, s37
	s_and_b32 vcc_lo, s56, s0
	s_and_b32 s99, s44, s36
	v_cmp_gt_i32_e64 s44, s59, v6
	v_cmp_lt_i32_e64 s1, -1, v15
	v_or_b32_e32 v15, v6, v9
	s_delay_alu instid0(VALU_DEP_3) | instskip(NEXT) | instid1(VALU_DEP_2)
	s_and_b32 s82, s44, s37
	s_and_b32 s1, s43, s1
	s_delay_alu instid0(VALU_DEP_1) | instskip(SKIP_1) | instid1(SALU_CYCLE_1)
	v_or_b32_e32 v16, v15, v13
	s_and_b32 s1, s1, s37
	s_and_b32 s100, s1, s36
	s_delay_alu instid0(VALU_DEP_1) | instskip(SKIP_1) | instid1(VALU_DEP_2)
	v_cmp_lt_i32_e64 s2, -1, v16
	v_or_b32_e32 v16, v4, v7
	s_and_b32 s1, s44, s2
	s_delay_alu instid0(VALU_DEP_1)
	v_or_b32_e32 v17, v16, v13
	s_and_b32 s2, s1, s37
	s_and_b32 s1, s56, s14
	;; [unrolled: 1-line block ×4, first 2 shown]
	v_cmp_lt_i32_e64 s3, -1, v17
	v_or_b32_e32 v17, v5, v7
	s_and_b32 s56, s6, s23
	s_delay_alu instid0(VALU_DEP_2) | instskip(NEXT) | instid1(VALU_DEP_1)
	s_and_b32 s3, s42, s3
	v_or_b32_e32 v18, v17, v13
	s_and_b32 s3, s3, s34
	s_delay_alu instid0(SALU_CYCLE_1) | instskip(NEXT) | instid1(VALU_DEP_1)
	s_and_b32 s102, s3, s36
	v_cmp_lt_i32_e64 s4, -1, v18
	v_or_b32_e32 v18, v6, v7
	s_delay_alu instid0(VALU_DEP_2) | instskip(NEXT) | instid1(VALU_DEP_1)
	s_and_b32 s3, s43, s4
	v_or_b32_e32 v19, v18, v13
	s_and_b32 s4, s3, s34
	s_and_b32 s3, s56, s0
	;; [unrolled: 1-line block ×3, first 2 shown]
	s_delay_alu instid0(VALU_DEP_1) | instskip(SKIP_1) | instid1(VALU_DEP_2)
	v_cmp_lt_i32_e64 s5, -1, v19
	v_or_b32_e32 v19, v4, v8
	s_and_b32 s4, s44, s5
	s_delay_alu instid0(VALU_DEP_1)
	v_or_b32_e32 v20, v19, v13
	s_and_b32 s5, s4, s34
	s_and_b32 s4, s56, s14
	;; [unrolled: 1-line block ×4, first 2 shown]
	v_cmp_lt_i32_e64 s7, -1, v20
	v_or_b32_e32 v20, v5, v8
	s_and_b32 s56, s6, s26
	s_and_b32 s26, s27, s26
	s_delay_alu instid0(VALU_DEP_2) | instskip(NEXT) | instid1(VALU_DEP_1)
	s_and_b32 s7, s42, s7
	v_or_b32_e32 v21, v20, v13
	s_and_b32 s7, s7, s29
	s_delay_alu instid0(SALU_CYCLE_1) | instskip(NEXT) | instid1(VALU_DEP_1)
	s_and_b32 vcc_hi, s7, s36
	v_cmp_lt_i32_e64 s8, -1, v21
	v_or_b32_e32 v21, v6, v8
	s_delay_alu instid0(VALU_DEP_2) | instskip(NEXT) | instid1(VALU_DEP_1)
	s_and_b32 s6, s43, s8
	v_or_b32_e32 v22, v21, v13
	s_and_b32 s7, s6, s29
	s_and_b32 s6, s56, s0
	;; [unrolled: 1-line block ×3, first 2 shown]
	s_delay_alu instid0(VALU_DEP_1) | instskip(SKIP_2) | instid1(VALU_DEP_3)
	v_cmp_lt_i32_e64 s35, -1, v22
	v_or_b32_e32 v22, v11, v10
	v_or_b32_e32 v11, v11, v14
	s_and_b32 s7, s44, s35
	s_delay_alu instid0(VALU_DEP_2) | instskip(SKIP_1) | instid1(VALU_DEP_3)
	v_cmp_lt_i32_e64 s31, -1, v22
	v_or_b32_e32 v22, v12, v10
	v_cmp_lt_i32_e64 s21, -1, v11
	v_or_b32_e32 v11, v12, v14
	v_or_b32_e32 v12, v19, v14
	s_and_b32 s8, s7, s29
	v_cmp_lt_i32_e64 s9, -1, v22
	v_or_b32_e32 v22, v15, v10
	v_cmp_lt_i32_e64 s22, -1, v11
	v_or_b32_e32 v11, v15, v14
	v_or_b32_e32 v15, v21, v14
	s_and_b32 s7, s56, s14
	v_cmp_lt_i32_e64 s10, -1, v22
	v_or_b32_e32 v22, v16, v10
	v_cmp_lt_i32_e64 s24, -1, v11
	v_or_b32_e32 v11, v16, v14
	s_and_b32 s35, s8, s36
	s_and_b32 s8, s56, s11
	v_cmp_lt_i32_e64 s12, -1, v22
	v_or_b32_e32 v22, v17, v10
	v_cmp_lt_i32_e64 s25, -1, v11
	v_or_b32_e32 v11, v17, v14
	s_and_b32 s56, s17, s20
	;; [unrolled: 6-line block ×3, first 2 shown]
	s_and_b32 s9, s56, s0
	v_cmp_lt_i32_e64 s15, -1, v22
	v_or_b32_e32 v22, v19, v10
	v_cmp_lt_i32_e64 s33, -1, v11
	v_mul_lo_u32 v11, v13, s58
	v_or_b32_e32 v13, v20, v14
	v_mul_lo_u32 v14, v14, s58
	v_cmp_lt_i32_e64 s16, -1, v22
	v_or_b32_e32 v22, v20, v10
	s_and_b32 s37, s82, s10
	s_and_b32 s10, s56, s14
	;; [unrolled: 1-line block ×3, first 2 shown]
	v_add_nc_u32_e32 v16, v9, v11
	v_cmp_lt_i32_e64 s19, -1, v22
	v_or_b32_e32 v22, v21, v10
	v_mul_lo_u32 v10, v10, s58
	v_add_nc_u32_e32 v17, v7, v11
	v_add_nc_u32_e32 v18, v8, v11
	;; [unrolled: 1-line block ×5, first 2 shown]
	v_mul_lo_u32 v11, v16, s59
	v_mul_lo_u32 v17, v17, s59
	v_add_nc_u32_e32 v29, v7, v10
	v_add_nc_u32_e32 v23, v9, v10
	;; [unrolled: 1-line block ×3, first 2 shown]
	v_mul_lo_u32 v24, v18, s59
	v_mul_lo_u32 v48, v41, s59
	;; [unrolled: 1-line block ×7, first 2 shown]
	s_and_b32 s56, s68, s34
	s_and_b32 s13, s43, s13
	v_cmp_lt_i32_e64 s18, -1, v22
	s_and_b32 s79, s56, s38
	s_and_b32 s56, s13, s34
	;; [unrolled: 1-line block ×4, first 2 shown]
	v_cmp_lt_i32_e64 s40, -1, v13
	v_cmp_lt_i32_e64 s41, -1, v15
	v_add_nc_u32_e32 v7, v4, v11
	v_add_nc_u32_e32 v9, v5, v11
	;; [unrolled: 1-line block ×9, first 2 shown]
	s_and_b32 s31, s75, s31
	v_add_nc_u32_e32 v25, v4, v30
	v_add_nc_u32_e32 v27, v5, v30
	;; [unrolled: 1-line block ×4, first 2 shown]
	s_and_b32 s97, s56, s38
	v_add_nc_u32_e32 v33, v5, v36
	s_and_b32 s56, s15, s34
	v_add_nc_u32_e32 v35, v6, v36
	;; [unrolled: 2-line block ×3, first 2 shown]
	v_add_nc_u32_e32 v39, v5, v42
	v_add_nc_u32_e32 v41, v6, v42
	s_and_b32 s75, s21, s28
	v_add_nc_u32_e32 v43, v4, v48
	s_and_b32 s21, s81, s22
	;; [unrolled: 2-line block ×4, first 2 shown]
	v_add_nc_u32_e32 v49, v4, v54
	v_add_nc_u32_e32 v51, v5, v54
	;; [unrolled: 1-line block ×5, first 2 shown]
	s_and_b32 s68, s56, s38
	s_and_b32 s56, s42, s16
	;; [unrolled: 1-line block ×7, first 2 shown]
	v_add_nc_u32_e32 v74, v6, v58
	v_cmp_lt_i32_e64 s39, -1, v12
	s_and_b32 s56, s56, s29
	s_and_b32 s74, s19, s38
	;; [unrolled: 1-line block ×5, first 2 shown]
	v_ashrrev_i32_e32 v8, 31, v7
	v_ashrrev_i32_e32 v10, 31, v9
	;; [unrolled: 1-line block ×26, first 2 shown]
	s_and_b32 s31, s31, s38
	s_and_b32 s36, s36, s38
	;; [unrolled: 1-line block ×14, first 2 shown]
	v_ashrrev_i32_e32 v75, 31, v74
	s_and_b32 s20, s83, s0
	s_and_b32 s56, s21, s28
	;; [unrolled: 1-line block ×13, first 2 shown]
	s_mul_i32 s26, s71, s91
	s_and_b32 s34, s34, s29
	v_lshlrev_b64 v[4:5], 1, v[7:8]
	v_lshlrev_b64 v[6:7], 1, v[9:10]
	;; [unrolled: 1-line block ×26, first 2 shown]
	v_mul_lo_u32 v58, s26, v69
	s_and_b32 s27, s34, s28
	s_and_b32 s34, s43, s40
	;; [unrolled: 1-line block ×3, first 2 shown]
	v_lshlrev_b64 v[56:57], 1, v[74:75]
	v_mov_b32_e32 v74, 0
	s_and_b32 s34, s34, s29
	s_and_b32 s29, s39, s29
	;; [unrolled: 1-line block ×3, first 2 shown]
	s_mov_b64 s[42:43], s[64:65]
	s_mov_b32 s40, s72
	s_and_b32 s34, s34, s28
	s_mov_b32 s44, s73
	s_mov_b32 s73, s66
	s_and_b32 s28, s29, s28
	s_mov_b32 s29, s91
	s_branch .LBB30_6
.LBB30_5:                               ;   in Loop: Header=BB30_6 Depth=2
	s_or_b32 exec_lo, exec_lo, s39
	s_waitcnt vmcnt(26)
	v_lshlrev_b32_e32 v75, 16, v75
	v_add_co_u32 v0, s26, v0, 54
	s_delay_alu instid0(VALU_DEP_1) | instskip(NEXT) | instid1(VALU_DEP_3)
	v_add_co_ci_u32_e64 v1, s26, 0, v1, s26
	v_fma_f32 v59, v59, v75, v74
	s_waitcnt vmcnt(6)
	v_lshlrev_b32_e32 v75, 16, v117
	v_add_nc_u32_e32 v58, s71, v58
	s_add_i32 s29, s29, -1
	s_delay_alu instid0(SALU_CYCLE_1) | instskip(SKIP_1) | instid1(VALU_DEP_1)
	s_cmp_eq_u32 s29, 0
	v_dual_cndmask_b32 v59, v74, v59 :: v_dual_lshlrev_b32 v74, 16, v78
	v_fma_f32 v74, v80, v74, v59
	s_delay_alu instid0(VALU_DEP_1) | instskip(SKIP_1) | instid1(VALU_DEP_1)
	v_cndmask_b32_e64 v59, v59, v74, s1
	v_lshlrev_b32_e32 v74, 16, v81
	v_fma_f32 v74, v79, v74, v59
	s_delay_alu instid0(VALU_DEP_1) | instskip(SKIP_1) | instid1(VALU_DEP_1)
	v_cndmask_b32_e64 v59, v59, v74, s2
	v_lshlrev_b32_e32 v74, 16, v82
	;; [unrolled: 4-line block ×18, first 2 shown]
	v_fma_f32 v74, v116, v74, v59
	s_delay_alu instid0(VALU_DEP_1) | instskip(NEXT) | instid1(VALU_DEP_1)
	v_cndmask_b32_e64 v59, v59, v74, s21
	v_fma_f32 v74, v115, v75, v59
	s_waitcnt vmcnt(5)
	v_lshlrev_b32_e32 v75, 16, v119
	s_delay_alu instid0(VALU_DEP_2) | instskip(NEXT) | instid1(VALU_DEP_1)
	v_cndmask_b32_e64 v59, v59, v74, s22
	v_fma_f32 v74, v120, v75, v59
	s_waitcnt vmcnt(4)
	v_lshlrev_b32_e32 v75, 16, v121
	s_delay_alu instid0(VALU_DEP_2) | instskip(NEXT) | instid1(VALU_DEP_1)
	v_cndmask_b32_e64 v59, v59, v74, s23
	v_fma_f32 v74, v118, v75, v59
	s_waitcnt vmcnt(3)
	v_lshlrev_b32_e32 v75, 16, v122
	s_delay_alu instid0(VALU_DEP_2) | instskip(NEXT) | instid1(VALU_DEP_1)
	v_cndmask_b32_e64 v59, v59, v74, s24
	v_fma_f32 v74, v124, v75, v59
	s_waitcnt vmcnt(2)
	v_lshlrev_b32_e32 v75, 16, v125
	s_delay_alu instid0(VALU_DEP_2) | instskip(NEXT) | instid1(VALU_DEP_1)
	v_cndmask_b32_e64 v59, v59, v74, s25
	v_fma_f32 v74, v123, v75, v59
	s_waitcnt vmcnt(1)
	v_lshlrev_b32_e32 v75, 16, v127
	s_delay_alu instid0(VALU_DEP_2) | instskip(NEXT) | instid1(VALU_DEP_1)
	v_cndmask_b32_e64 v59, v59, v74, s0
	v_fma_f32 v74, v128, v75, v59
	s_waitcnt vmcnt(0)
	v_lshlrev_b32_e32 v75, 16, v129
	s_delay_alu instid0(VALU_DEP_2) | instskip(NEXT) | instid1(VALU_DEP_1)
	v_cndmask_b32_e64 v59, v59, v74, s14
	v_fma_f32 v74, v126, v75, v59
	s_delay_alu instid0(VALU_DEP_1)
	v_cndmask_b32_e64 v74, v59, v74, s11
	s_cbranch_scc1 .LBB30_2
.LBB30_6:                               ;   Parent Loop BB30_3 Depth=1
                                        ; =>  This Inner Loop Header: Depth=2
	global_load_u16 v75, v[0:1], off
	v_ashrrev_i32_e32 v59, 31, v58
	s_delay_alu instid0(VALU_DEP_1) | instskip(SKIP_1) | instid1(VALU_DEP_2)
	v_lshlrev_b64 v[76:77], 1, v[58:59]
	v_mov_b32_e32 v59, 0
	v_add_co_u32 v76, s26, v72, v76
	s_delay_alu instid0(VALU_DEP_1)
	v_add_co_ci_u32_e64 v77, s26, v73, v77, s26
	s_and_saveexec_b32 s39, s99
	s_cbranch_execz .LBB30_8
; %bb.7:                                ;   in Loop: Header=BB30_6 Depth=2
	s_delay_alu instid0(VALU_DEP_2) | instskip(NEXT) | instid1(VALU_DEP_1)
	v_add_co_u32 v78, s26, v76, v4
	v_add_co_ci_u32_e64 v79, s26, v77, v5, s26
	global_load_u16 v59, v[78:79], off
	s_waitcnt vmcnt(0)
	v_lshlrev_b32_e32 v59, 16, v59
.LBB30_8:                               ;   in Loop: Header=BB30_6 Depth=2
	s_or_b32 exec_lo, exec_lo, s39
	global_load_u16 v78, v[0:1], off offset:2
	v_dual_mov_b32 v79, 0 :: v_dual_mov_b32 v80, 0
	s_and_saveexec_b32 s39, s100
	s_cbranch_execz .LBB30_10
; %bb.9:                                ;   in Loop: Header=BB30_6 Depth=2
	v_add_co_u32 v80, s26, v76, v6
	s_delay_alu instid0(VALU_DEP_1)
	v_add_co_ci_u32_e64 v81, s26, v77, v7, s26
	global_load_u16 v80, v[80:81], off
	s_waitcnt vmcnt(0)
	v_lshlrev_b32_e32 v80, 16, v80
.LBB30_10:                              ;   in Loop: Header=BB30_6 Depth=2
	s_or_b32 exec_lo, exec_lo, s39
	global_load_u16 v81, v[0:1], off offset:4
	s_and_saveexec_b32 s39, s101
	s_cbranch_execz .LBB30_12
; %bb.11:                               ;   in Loop: Header=BB30_6 Depth=2
	v_add_co_u32 v82, s26, v76, v8
	s_delay_alu instid0(VALU_DEP_1)
	v_add_co_ci_u32_e64 v83, s26, v77, v9, s26
	global_load_u16 v79, v[82:83], off
	s_waitcnt vmcnt(0)
	v_lshlrev_b32_e32 v79, 16, v79
.LBB30_12:                              ;   in Loop: Header=BB30_6 Depth=2
	s_or_b32 exec_lo, exec_lo, s39
	global_load_u16 v82, v[0:1], off offset:6
	v_dual_mov_b32 v83, 0 :: v_dual_mov_b32 v84, 0
	s_and_saveexec_b32 s39, s102
	s_cbranch_execz .LBB30_14
; %bb.13:                               ;   in Loop: Header=BB30_6 Depth=2
	v_add_co_u32 v84, s26, v76, v10
	s_delay_alu instid0(VALU_DEP_1)
	v_add_co_ci_u32_e64 v85, s26, v77, v11, s26
	global_load_u16 v84, v[84:85], off
	s_waitcnt vmcnt(0)
	v_lshlrev_b32_e32 v84, 16, v84
.LBB30_14:                              ;   in Loop: Header=BB30_6 Depth=2
	s_or_b32 exec_lo, exec_lo, s39
	global_load_u16 v85, v[0:1], off offset:8
	s_and_saveexec_b32 s39, s103
	s_cbranch_execz .LBB30_16
; %bb.15:                               ;   in Loop: Header=BB30_6 Depth=2
	v_add_co_u32 v86, s26, v76, v12
	s_delay_alu instid0(VALU_DEP_1)
	v_add_co_ci_u32_e64 v87, s26, v77, v13, s26
	global_load_u16 v83, v[86:87], off
	s_waitcnt vmcnt(0)
	v_lshlrev_b32_e32 v83, 16, v83
.LBB30_16:                              ;   in Loop: Header=BB30_6 Depth=2
	s_or_b32 exec_lo, exec_lo, s39
	global_load_u16 v86, v[0:1], off offset:10
	v_dual_mov_b32 v87, 0 :: v_dual_mov_b32 v88, 0
	s_and_saveexec_b32 s39, s104
	s_cbranch_execz .LBB30_18
; %bb.17:                               ;   in Loop: Header=BB30_6 Depth=2
	v_add_co_u32 v88, s26, v76, v14
	s_delay_alu instid0(VALU_DEP_1)
	v_add_co_ci_u32_e64 v89, s26, v77, v15, s26
	global_load_u16 v88, v[88:89], off
	s_waitcnt vmcnt(0)
	v_lshlrev_b32_e32 v88, 16, v88
.LBB30_18:                              ;   in Loop: Header=BB30_6 Depth=2
	s_or_b32 exec_lo, exec_lo, s39
	global_load_u16 v89, v[0:1], off offset:12
	s_and_saveexec_b32 s39, vcc_hi
	s_cbranch_execz .LBB30_20
; %bb.19:                               ;   in Loop: Header=BB30_6 Depth=2
	v_add_co_u32 v90, s26, v76, v16
	s_delay_alu instid0(VALU_DEP_1)
	v_add_co_ci_u32_e64 v91, s26, v77, v17, s26
	global_load_u16 v87, v[90:91], off
	s_waitcnt vmcnt(0)
	v_lshlrev_b32_e32 v87, 16, v87
.LBB30_20:                              ;   in Loop: Header=BB30_6 Depth=2
	s_or_b32 exec_lo, exec_lo, s39
	global_load_u16 v90, v[0:1], off offset:14
	v_dual_mov_b32 v91, 0 :: v_dual_mov_b32 v92, 0
	s_and_saveexec_b32 s39, s80
	s_cbranch_execz .LBB30_22
; %bb.21:                               ;   in Loop: Header=BB30_6 Depth=2
	v_add_co_u32 v92, s26, v76, v18
	s_delay_alu instid0(VALU_DEP_1)
	v_add_co_ci_u32_e64 v93, s26, v77, v19, s26
	global_load_u16 v92, v[92:93], off
	s_waitcnt vmcnt(0)
	v_lshlrev_b32_e32 v92, 16, v92
.LBB30_22:                              ;   in Loop: Header=BB30_6 Depth=2
	s_or_b32 exec_lo, exec_lo, s39
	global_load_u16 v93, v[0:1], off offset:16
	s_and_saveexec_b32 s39, s35
	s_cbranch_execz .LBB30_24
; %bb.23:                               ;   in Loop: Header=BB30_6 Depth=2
	v_add_co_u32 v94, s26, v76, v20
	s_delay_alu instid0(VALU_DEP_1)
	v_add_co_ci_u32_e64 v95, s26, v77, v21, s26
	global_load_u16 v91, v[94:95], off
	s_waitcnt vmcnt(0)
	v_lshlrev_b32_e32 v91, 16, v91
.LBB30_24:                              ;   in Loop: Header=BB30_6 Depth=2
	s_or_b32 exec_lo, exec_lo, s39
	global_load_u16 v94, v[0:1], off offset:18
	v_dual_mov_b32 v95, 0 :: v_dual_mov_b32 v96, 0
	s_and_saveexec_b32 s39, s31
	s_cbranch_execz .LBB30_26
; %bb.25:                               ;   in Loop: Header=BB30_6 Depth=2
	v_add_co_u32 v96, s26, v76, v22
	s_delay_alu instid0(VALU_DEP_1)
	v_add_co_ci_u32_e64 v97, s26, v77, v23, s26
	global_load_u16 v96, v[96:97], off
	s_waitcnt vmcnt(0)
	v_lshlrev_b32_e32 v96, 16, v96
.LBB30_26:                              ;   in Loop: Header=BB30_6 Depth=2
	s_or_b32 exec_lo, exec_lo, s39
	global_load_u16 v97, v[0:1], off offset:20
	s_and_saveexec_b32 s39, s36
	;; [unrolled: 25-line block ×7, first 2 shown]
	s_cbranch_execz .LBB30_48
; %bb.47:                               ;   in Loop: Header=BB30_6 Depth=2
	v_add_co_u32 v118, s26, v76, v44
	s_delay_alu instid0(VALU_DEP_1)
	v_add_co_ci_u32_e64 v119, s26, v77, v45, s26
	global_load_u16 v115, v[118:119], off
	s_waitcnt vmcnt(0)
	v_lshlrev_b32_e32 v115, 16, v115
.LBB30_48:                              ;   in Loop: Header=BB30_6 Depth=2
	s_or_b32 exec_lo, exec_lo, s39
	global_load_u16 v119, v[0:1], off offset:42
	v_mov_b32_e32 v118, 0
	v_mov_b32_e32 v120, 0
	s_and_saveexec_b32 s39, s82
	s_cbranch_execz .LBB30_50
; %bb.49:                               ;   in Loop: Header=BB30_6 Depth=2
	v_add_co_u32 v120, s26, v76, v46
	s_delay_alu instid0(VALU_DEP_1)
	v_add_co_ci_u32_e64 v121, s26, v77, v47, s26
	global_load_u16 v120, v[120:121], off
	s_waitcnt vmcnt(0)
	v_lshlrev_b32_e32 v120, 16, v120
.LBB30_50:                              ;   in Loop: Header=BB30_6 Depth=2
	s_or_b32 exec_lo, exec_lo, s39
	global_load_u16 v121, v[0:1], off offset:44
	s_and_saveexec_b32 s39, s30
	s_cbranch_execz .LBB30_52
; %bb.51:                               ;   in Loop: Header=BB30_6 Depth=2
	v_add_co_u32 v122, s26, v76, v48
	s_delay_alu instid0(VALU_DEP_1)
	v_add_co_ci_u32_e64 v123, s26, v77, v49, s26
	global_load_u16 v118, v[122:123], off
	s_waitcnt vmcnt(0)
	v_lshlrev_b32_e32 v118, 16, v118
.LBB30_52:                              ;   in Loop: Header=BB30_6 Depth=2
	s_or_b32 exec_lo, exec_lo, s39
	global_load_u16 v122, v[0:1], off offset:46
	v_dual_mov_b32 v123, 0 :: v_dual_mov_b32 v124, 0
	s_and_saveexec_b32 s39, s33
	s_cbranch_execz .LBB30_54
; %bb.53:                               ;   in Loop: Header=BB30_6 Depth=2
	v_add_co_u32 v124, s26, v76, v50
	s_delay_alu instid0(VALU_DEP_1)
	v_add_co_ci_u32_e64 v125, s26, v77, v51, s26
	global_load_u16 v124, v[124:125], off
	s_waitcnt vmcnt(0)
	v_lshlrev_b32_e32 v124, 16, v124
.LBB30_54:                              ;   in Loop: Header=BB30_6 Depth=2
	s_or_b32 exec_lo, exec_lo, s39
	global_load_u16 v125, v[0:1], off offset:48
	s_and_saveexec_b32 s39, s27
	s_cbranch_execz .LBB30_56
; %bb.55:                               ;   in Loop: Header=BB30_6 Depth=2
	v_add_co_u32 v126, s26, v76, v52
	s_delay_alu instid0(VALU_DEP_1)
	v_add_co_ci_u32_e64 v127, s26, v77, v53, s26
	global_load_u16 v123, v[126:127], off
	s_waitcnt vmcnt(0)
	v_lshlrev_b32_e32 v123, 16, v123
.LBB30_56:                              ;   in Loop: Header=BB30_6 Depth=2
	s_or_b32 exec_lo, exec_lo, s39
	global_load_u16 v127, v[0:1], off offset:50
	v_mov_b32_e32 v126, 0
	v_mov_b32_e32 v128, 0
	s_and_saveexec_b32 s39, s34
	s_cbranch_execz .LBB30_58
; %bb.57:                               ;   in Loop: Header=BB30_6 Depth=2
	v_add_co_u32 v128, s26, v76, v54
	s_delay_alu instid0(VALU_DEP_1)
	v_add_co_ci_u32_e64 v129, s26, v77, v55, s26
	global_load_u16 v128, v[128:129], off
	s_waitcnt vmcnt(0)
	v_lshlrev_b32_e32 v128, 16, v128
.LBB30_58:                              ;   in Loop: Header=BB30_6 Depth=2
	s_or_b32 exec_lo, exec_lo, s39
	global_load_u16 v129, v[0:1], off offset:52
	s_and_saveexec_b32 s39, s28
	s_cbranch_execz .LBB30_5
; %bb.59:                               ;   in Loop: Header=BB30_6 Depth=2
	v_add_co_u32 v76, s26, v76, v56
	s_delay_alu instid0(VALU_DEP_1)
	v_add_co_ci_u32_e64 v77, s26, v77, v57, s26
	global_load_u16 v76, v[76:77], off
	s_waitcnt vmcnt(0)
	v_lshlrev_b32_e32 v126, 16, v76
	s_branch .LBB30_5
.LBB30_60:
	s_nop 0
	s_sendmsg sendmsg(MSG_DEALLOC_VGPRS)
	s_endpgm
	.section	.rodata,"a",@progbits
	.p2align	6, 0x0
	.amdhsa_kernel _ZN2at6native12_GLOBAL__N_143conv_depthwise3d_cuda_backward_input_kernelIN3c108BFloat16EfLi3ELi3ELi3ELin1ELin1ELin1ELin1ELin1ELin1EEEvN5torch10headeronly6detail27GenericPackedTensorAccessorINS7_14TensorAccessorINS3_8ArrayRefIlEEKT_Lm4ENS6_16DefaultPtrTraitsEiEENS_6detail16IndexBoundsCheckILm5EiEESD_Lm5ESE_iEENS8_INS9_ISB_SC_Lm4ESE_iEESI_SC_Lm5ESE_iEESJ_iiiiiiiii
		.amdhsa_group_segment_fixed_size 0
		.amdhsa_private_segment_fixed_size 0
		.amdhsa_kernarg_size 440
		.amdhsa_user_sgpr_count 15
		.amdhsa_user_sgpr_dispatch_ptr 0
		.amdhsa_user_sgpr_queue_ptr 0
		.amdhsa_user_sgpr_kernarg_segment_ptr 1
		.amdhsa_user_sgpr_dispatch_id 0
		.amdhsa_user_sgpr_private_segment_size 0
		.amdhsa_wavefront_size32 1
		.amdhsa_uses_dynamic_stack 0
		.amdhsa_enable_private_segment 0
		.amdhsa_system_sgpr_workgroup_id_x 1
		.amdhsa_system_sgpr_workgroup_id_y 0
		.amdhsa_system_sgpr_workgroup_id_z 0
		.amdhsa_system_sgpr_workgroup_info 0
		.amdhsa_system_vgpr_workitem_id 0
		.amdhsa_next_free_vgpr 131
		.amdhsa_next_free_sgpr 105
		.amdhsa_reserve_vcc 1
		.amdhsa_float_round_mode_32 0
		.amdhsa_float_round_mode_16_64 0
		.amdhsa_float_denorm_mode_32 3
		.amdhsa_float_denorm_mode_16_64 3
		.amdhsa_dx10_clamp 1
		.amdhsa_ieee_mode 1
		.amdhsa_fp16_overflow 0
		.amdhsa_workgroup_processor_mode 1
		.amdhsa_memory_ordered 1
		.amdhsa_forward_progress 0
		.amdhsa_shared_vgpr_count 0
		.amdhsa_exception_fp_ieee_invalid_op 0
		.amdhsa_exception_fp_denorm_src 0
		.amdhsa_exception_fp_ieee_div_zero 0
		.amdhsa_exception_fp_ieee_overflow 0
		.amdhsa_exception_fp_ieee_underflow 0
		.amdhsa_exception_fp_ieee_inexact 0
		.amdhsa_exception_int_div_zero 0
	.end_amdhsa_kernel
	.section	.text._ZN2at6native12_GLOBAL__N_143conv_depthwise3d_cuda_backward_input_kernelIN3c108BFloat16EfLi3ELi3ELi3ELin1ELin1ELin1ELin1ELin1ELin1EEEvN5torch10headeronly6detail27GenericPackedTensorAccessorINS7_14TensorAccessorINS3_8ArrayRefIlEEKT_Lm4ENS6_16DefaultPtrTraitsEiEENS_6detail16IndexBoundsCheckILm5EiEESD_Lm5ESE_iEENS8_INS9_ISB_SC_Lm4ESE_iEESI_SC_Lm5ESE_iEESJ_iiiiiiiii,"axG",@progbits,_ZN2at6native12_GLOBAL__N_143conv_depthwise3d_cuda_backward_input_kernelIN3c108BFloat16EfLi3ELi3ELi3ELin1ELin1ELin1ELin1ELin1ELin1EEEvN5torch10headeronly6detail27GenericPackedTensorAccessorINS7_14TensorAccessorINS3_8ArrayRefIlEEKT_Lm4ENS6_16DefaultPtrTraitsEiEENS_6detail16IndexBoundsCheckILm5EiEESD_Lm5ESE_iEENS8_INS9_ISB_SC_Lm4ESE_iEESI_SC_Lm5ESE_iEESJ_iiiiiiiii,comdat
.Lfunc_end30:
	.size	_ZN2at6native12_GLOBAL__N_143conv_depthwise3d_cuda_backward_input_kernelIN3c108BFloat16EfLi3ELi3ELi3ELin1ELin1ELin1ELin1ELin1ELin1EEEvN5torch10headeronly6detail27GenericPackedTensorAccessorINS7_14TensorAccessorINS3_8ArrayRefIlEEKT_Lm4ENS6_16DefaultPtrTraitsEiEENS_6detail16IndexBoundsCheckILm5EiEESD_Lm5ESE_iEENS8_INS9_ISB_SC_Lm4ESE_iEESI_SC_Lm5ESE_iEESJ_iiiiiiiii, .Lfunc_end30-_ZN2at6native12_GLOBAL__N_143conv_depthwise3d_cuda_backward_input_kernelIN3c108BFloat16EfLi3ELi3ELi3ELin1ELin1ELin1ELin1ELin1ELin1EEEvN5torch10headeronly6detail27GenericPackedTensorAccessorINS7_14TensorAccessorINS3_8ArrayRefIlEEKT_Lm4ENS6_16DefaultPtrTraitsEiEENS_6detail16IndexBoundsCheckILm5EiEESD_Lm5ESE_iEENS8_INS9_ISB_SC_Lm4ESE_iEESI_SC_Lm5ESE_iEESJ_iiiiiiiii
                                        ; -- End function
	.section	.AMDGPU.csdata,"",@progbits
; Kernel info:
; codeLenInByte = 6752
; NumSgprs: 107
; NumVgprs: 131
; ScratchSize: 0
; MemoryBound: 0
; FloatMode: 240
; IeeeMode: 1
; LDSByteSize: 0 bytes/workgroup (compile time only)
; SGPRBlocks: 13
; VGPRBlocks: 16
; NumSGPRsForWavesPerEU: 107
; NumVGPRsForWavesPerEU: 131
; Occupancy: 10
; WaveLimiterHint : 0
; COMPUTE_PGM_RSRC2:SCRATCH_EN: 0
; COMPUTE_PGM_RSRC2:USER_SGPR: 15
; COMPUTE_PGM_RSRC2:TRAP_HANDLER: 0
; COMPUTE_PGM_RSRC2:TGID_X_EN: 1
; COMPUTE_PGM_RSRC2:TGID_Y_EN: 0
; COMPUTE_PGM_RSRC2:TGID_Z_EN: 0
; COMPUTE_PGM_RSRC2:TIDIG_COMP_CNT: 0
	.section	.text._ZN2at6native12_GLOBAL__N_143conv_depthwise3d_cuda_backward_input_kernelIN3c108BFloat16EfLin1ELin1ELin1ELin1ELin1ELin1ELin1ELin1ELin1EEEvN5torch10headeronly6detail27GenericPackedTensorAccessorINS7_14TensorAccessorINS3_8ArrayRefIlEEKT_Lm4ENS6_16DefaultPtrTraitsEiEENS_6detail16IndexBoundsCheckILm5EiEESD_Lm5ESE_iEENS8_INS9_ISB_SC_Lm4ESE_iEESI_SC_Lm5ESE_iEESJ_iiiiiiiii,"axG",@progbits,_ZN2at6native12_GLOBAL__N_143conv_depthwise3d_cuda_backward_input_kernelIN3c108BFloat16EfLin1ELin1ELin1ELin1ELin1ELin1ELin1ELin1ELin1EEEvN5torch10headeronly6detail27GenericPackedTensorAccessorINS7_14TensorAccessorINS3_8ArrayRefIlEEKT_Lm4ENS6_16DefaultPtrTraitsEiEENS_6detail16IndexBoundsCheckILm5EiEESD_Lm5ESE_iEENS8_INS9_ISB_SC_Lm4ESE_iEESI_SC_Lm5ESE_iEESJ_iiiiiiiii,comdat
	.globl	_ZN2at6native12_GLOBAL__N_143conv_depthwise3d_cuda_backward_input_kernelIN3c108BFloat16EfLin1ELin1ELin1ELin1ELin1ELin1ELin1ELin1ELin1EEEvN5torch10headeronly6detail27GenericPackedTensorAccessorINS7_14TensorAccessorINS3_8ArrayRefIlEEKT_Lm4ENS6_16DefaultPtrTraitsEiEENS_6detail16IndexBoundsCheckILm5EiEESD_Lm5ESE_iEENS8_INS9_ISB_SC_Lm4ESE_iEESI_SC_Lm5ESE_iEESJ_iiiiiiiii ; -- Begin function _ZN2at6native12_GLOBAL__N_143conv_depthwise3d_cuda_backward_input_kernelIN3c108BFloat16EfLin1ELin1ELin1ELin1ELin1ELin1ELin1ELin1ELin1EEEvN5torch10headeronly6detail27GenericPackedTensorAccessorINS7_14TensorAccessorINS3_8ArrayRefIlEEKT_Lm4ENS6_16DefaultPtrTraitsEiEENS_6detail16IndexBoundsCheckILm5EiEESD_Lm5ESE_iEENS8_INS9_ISB_SC_Lm4ESE_iEESI_SC_Lm5ESE_iEESJ_iiiiiiiii
	.p2align	8
	.type	_ZN2at6native12_GLOBAL__N_143conv_depthwise3d_cuda_backward_input_kernelIN3c108BFloat16EfLin1ELin1ELin1ELin1ELin1ELin1ELin1ELin1ELin1EEEvN5torch10headeronly6detail27GenericPackedTensorAccessorINS7_14TensorAccessorINS3_8ArrayRefIlEEKT_Lm4ENS6_16DefaultPtrTraitsEiEENS_6detail16IndexBoundsCheckILm5EiEESD_Lm5ESE_iEENS8_INS9_ISB_SC_Lm4ESE_iEESI_SC_Lm5ESE_iEESJ_iiiiiiiii,@function
_ZN2at6native12_GLOBAL__N_143conv_depthwise3d_cuda_backward_input_kernelIN3c108BFloat16EfLin1ELin1ELin1ELin1ELin1ELin1ELin1ELin1ELin1EEEvN5torch10headeronly6detail27GenericPackedTensorAccessorINS7_14TensorAccessorINS3_8ArrayRefIlEEKT_Lm4ENS6_16DefaultPtrTraitsEiEENS_6detail16IndexBoundsCheckILm5EiEESD_Lm5ESE_iEENS8_INS9_ISB_SC_Lm4ESE_iEESI_SC_Lm5ESE_iEESJ_iiiiiiiii: ; @_ZN2at6native12_GLOBAL__N_143conv_depthwise3d_cuda_backward_input_kernelIN3c108BFloat16EfLin1ELin1ELin1ELin1ELin1ELin1ELin1ELin1ELin1EEEvN5torch10headeronly6detail27GenericPackedTensorAccessorINS7_14TensorAccessorINS3_8ArrayRefIlEEKT_Lm4ENS6_16DefaultPtrTraitsEiEENS_6detail16IndexBoundsCheckILm5EiEESD_Lm5ESE_iEENS8_INS9_ISB_SC_Lm4ESE_iEESI_SC_Lm5ESE_iEESJ_iiiiiiiii
; %bb.0:
	s_clause 0x2
	s_load_b128 s[16:19], s[0:1], 0x38
	s_load_b32 s4, s[0:1], 0xc4
	s_load_b64 s[6:7], s[0:1], 0x48
	s_mov_b32 s8, exec_lo
	s_waitcnt lgkmcnt(0)
	s_abs_i32 s33, s17
	s_add_u32 s2, s0, 0xb8
	v_cvt_f32_u32_e32 v1, s33
	s_addc_u32 s3, s1, 0
	s_and_b32 s4, s4, 0xffff
	s_mul_i32 s34, s7, s16
	s_delay_alu instid0(SALU_CYCLE_1) | instskip(SKIP_3) | instid1(VALU_DEP_1)
	s_ashr_i32 s35, s34, 31
	v_rcp_iflag_f32_e32 v2, v1
	s_waitcnt_depctr 0xfff
	v_dual_mov_b32 v1, 0 :: v_dual_mul_f32 v4, 0x4f7ffffe, v2
	v_mad_u64_u32 v[2:3], null, s4, s15, v[0:1]
	s_delay_alu instid0(VALU_DEP_2) | instskip(NEXT) | instid1(VALU_DEP_1)
	v_cvt_u32_f32_e32 v0, v4
	v_readfirstlane_b32 s5, v0
	s_delay_alu instid0(VALU_DEP_3)
	v_cmpx_gt_i64_e64 s[34:35], v[2:3]
	s_cbranch_execz .LBB31_18
; %bb.1:
	s_clause 0x1
	s_load_b128 s[20:23], s[0:1], 0xc
	s_load_b64 s[36:37], s[0:1], 0x0
	s_sub_i32 s28, 0, s33
	s_ashr_i32 s16, s17, 31
	s_mul_i32 s24, s28, s5
	s_load_b256 s[8:15], s[0:1], 0x90
	s_mul_hi_u32 s24, s5, s24
	s_load_b32 s2, s[2:3], 0x0
	s_add_i32 s5, s5, s24
	s_load_b128 s[24:27], s[0:1], 0x70
	v_mul_lo_u32 v1, s28, v0
	s_clause 0x1
	s_load_b64 s[38:39], s[0:1], 0x1c
	s_load_b64 s[40:41], s[0:1], 0x30
	s_mov_b32 s44, 0
	s_delay_alu instid0(VALU_DEP_1)
	v_mul_hi_u32 v1, v0, v1
	s_waitcnt lgkmcnt(0)
	s_abs_i32 s29, s20
	s_ashr_i32 s20, s20, 31
	s_mul_hi_u32 s5, s29, s5
	s_xor_b32 s30, s20, s16
	s_mul_i32 s27, s5, s33
	s_load_b32 s20, s[0:1], 0xb0
	s_sub_i32 s27, s29, s27
	s_add_i32 s29, s5, 1
	s_sub_i32 s31, s27, s33
	s_cmp_ge_u32 s27, s33
	s_cselect_b32 s5, s29, s5
	s_cselect_b32 s27, s31, s27
	s_add_i32 s29, s5, 1
	s_cmp_ge_u32 s27, s33
	s_load_b32 s27, s[0:1], 0x7c
	s_cselect_b32 s3, s29, s5
	s_delay_alu instid0(SALU_CYCLE_1) | instskip(NEXT) | instid1(SALU_CYCLE_1)
	s_xor_b32 s3, s3, s30
	s_sub_i32 s45, s3, s30
	s_cmp_gt_i32 s24, 0
	s_clause 0x1
	s_load_b64 s[42:43], s[0:1], 0x60
	s_load_b128 s[28:31], s[0:1], 0x50
	s_cselect_b32 s46, -1, 0
	s_cmp_gt_i32 s25, 0
	s_cselect_b32 s47, -1, 0
	s_cmp_gt_i32 s26, 0
	s_cselect_b32 s48, -1, 0
	s_abs_i32 s49, s6
	s_abs_i32 s50, s19
	v_cvt_f32_u32_e32 v4, s49
	v_cvt_f32_u32_e32 v5, s50
	s_abs_i32 s51, s18
	s_abs_i32 s52, s8
	;; [unrolled: 1-line block ×3, first 2 shown]
	v_rcp_iflag_f32_e32 v4, v4
	s_abs_i32 s54, s10
	v_cvt_f32_u32_e32 v6, s51
	v_cvt_f32_u32_e32 v7, s52
	;; [unrolled: 1-line block ×4, first 2 shown]
	v_rcp_iflag_f32_e32 v5, v5
	v_rcp_iflag_f32_e32 v6, v6
	;; [unrolled: 1-line block ×5, first 2 shown]
	v_mul_f32_e32 v4, 0x4f7ffffe, v4
	s_sub_i32 s0, 0, s49
	s_sub_i32 s1, 0, s50
	;; [unrolled: 1-line block ×4, first 2 shown]
	v_mul_f32_e32 v5, 0x4f7ffffe, v5
	v_cvt_u32_f32_e32 v4, v4
	v_dual_mul_f32 v6, 0x4f7ffffe, v6 :: v_dual_mul_f32 v7, 0x4f7ffffe, v7
	s_waitcnt_depctr 0xfff
	v_dual_mul_f32 v8, 0x4f7ffffe, v8 :: v_dual_mul_f32 v9, 0x4f7ffffe, v9
	v_mul_lo_u32 v10, s0, v4
	v_cvt_u32_f32_e32 v5, v5
	v_cvt_u32_f32_e32 v6, v6
	;; [unrolled: 1-line block ×5, first 2 shown]
	s_sub_i32 s55, 0, s53
	s_sub_i32 s56, 0, s54
	v_mul_lo_u32 v7, s1, v5
	v_mul_lo_u32 v8, s3, v6
	;; [unrolled: 1-line block ×4, first 2 shown]
	v_mul_hi_u32 v10, v4, v10
	v_mul_lo_u32 v15, s56, v13
	s_mul_i32 s55, s2, s4
	s_ashr_i32 s56, s6, 31
	v_mul_hi_u32 v7, v5, v7
	v_mul_hi_u32 v8, v6, v8
	;; [unrolled: 1-line block ×4, first 2 shown]
	v_add_nc_u32_e32 v4, v4, v10
	v_mul_hi_u32 v10, v13, v15
	s_ashr_i32 s57, s19, 31
	s_ashr_i32 s58, s18, 31
	v_add_nc_u32_e32 v5, v5, v7
	v_add_nc_u32_e32 v6, v6, v8
	;; [unrolled: 1-line block ×6, first 2 shown]
	s_ashr_i32 s59, s8, 31
	s_ashr_i32 s60, s9, 31
	s_ashr_i32 s61, s10, 31
	s_branch .LBB31_4
.LBB31_2:                               ;   in Loop: Header=BB31_4 Depth=1
	s_or_b32 exec_lo, exec_lo, s63
.LBB31_3:                               ;   in Loop: Header=BB31_4 Depth=1
	s_delay_alu instid0(SALU_CYCLE_1)
	s_or_b32 exec_lo, exec_lo, s62
	v_mul_lo_u32 v0, v16, s7
	s_waitcnt lgkmcnt(0)
	v_mul_lo_u32 v13, s28, v13
	v_mul_lo_u32 v16, s29, v14
	v_bfe_u32 v14, v15, 16, 1
	v_mul_lo_u32 v18, s30, v12
	v_mul_lo_u32 v11, s31, v11
	s_delay_alu instid0(VALU_DEP_3)
	v_add3_u32 v20, v15, v14, 0x7fff
	v_ashrrev_i32_e32 v1, 31, v0
	v_ashrrev_i32_e32 v14, 31, v13
	;; [unrolled: 1-line block ×4, first 2 shown]
	v_lshrrev_b32_e32 v20, 16, v20
	v_lshlrev_b64 v[0:1], 1, v[0:1]
	v_lshlrev_b64 v[13:14], 1, v[13:14]
	v_ashrrev_i32_e32 v12, 31, v11
	s_delay_alu instid0(VALU_DEP_3) | instskip(NEXT) | instid1(VALU_DEP_4)
	v_add_co_u32 v21, vcc_lo, s40, v0
	v_add_co_ci_u32_e32 v22, vcc_lo, s41, v1, vcc_lo
	v_lshlrev_b64 v[0:1], 1, v[16:17]
	s_delay_alu instid0(VALU_DEP_3) | instskip(NEXT) | instid1(VALU_DEP_3)
	v_add_co_u32 v13, vcc_lo, v21, v13
	v_add_co_ci_u32_e32 v14, vcc_lo, v22, v14, vcc_lo
	v_cmp_o_f32_e32 vcc_lo, v15, v15
	v_lshlrev_b64 v[11:12], 1, v[11:12]
	v_cndmask_b32_e32 v15, 0x7fc0, v20, vcc_lo
	v_add_co_u32 v13, vcc_lo, v13, v0
	v_add_co_ci_u32_e32 v14, vcc_lo, v14, v1, vcc_lo
	v_lshlrev_b64 v[0:1], 1, v[18:19]
	v_add_co_u32 v2, vcc_lo, v2, s55
	v_add_co_ci_u32_e32 v3, vcc_lo, 0, v3, vcc_lo
	s_delay_alu instid0(VALU_DEP_3) | instskip(NEXT) | instid1(VALU_DEP_4)
	v_add_co_u32 v0, vcc_lo, v13, v0
	v_add_co_ci_u32_e32 v1, vcc_lo, v14, v1, vcc_lo
	s_delay_alu instid0(VALU_DEP_3) | instskip(NEXT) | instid1(VALU_DEP_3)
	v_cmp_le_i64_e32 vcc_lo, s[34:35], v[2:3]
	v_add_co_u32 v0, s0, v0, v11
	s_delay_alu instid0(VALU_DEP_1)
	v_add_co_ci_u32_e64 v1, s0, v1, v12, s0
	s_or_b32 s44, vcc_lo, s44
	global_store_b16 v[0:1], v15, off
	s_and_not1_b32 exec_lo, exec_lo, s44
	s_cbranch_execz .LBB31_18
.LBB31_4:                               ; =>This Loop Header: Depth=1
                                        ;     Child Loop BB31_7 Depth 2
                                        ;       Child Loop BB31_10 Depth 3
                                        ;         Child Loop BB31_13 Depth 4
                                        ;           Child Loop BB31_16 Depth 5
	v_sub_nc_u32_e32 v0, 0, v2
	s_mov_b32 s62, exec_lo
	s_delay_alu instid0(VALU_DEP_1) | instskip(NEXT) | instid1(VALU_DEP_1)
	v_max_i32_e32 v0, v2, v0
	v_mul_hi_u32 v1, v0, v4
	s_delay_alu instid0(VALU_DEP_1) | instskip(NEXT) | instid1(VALU_DEP_1)
	v_mul_lo_u32 v11, v1, s49
	v_sub_nc_u32_e32 v0, v0, v11
	s_delay_alu instid0(VALU_DEP_1) | instskip(SKIP_1) | instid1(VALU_DEP_2)
	v_subrev_nc_u32_e32 v12, s49, v0
	v_cmp_le_u32_e32 vcc_lo, s49, v0
	v_dual_cndmask_b32 v0, v0, v12 :: v_dual_add_nc_u32 v11, 1, v1
	s_delay_alu instid0(VALU_DEP_1) | instskip(SKIP_1) | instid1(VALU_DEP_3)
	v_cndmask_b32_e32 v1, v1, v11, vcc_lo
	v_ashrrev_i32_e32 v11, 31, v2
	v_cmp_le_u32_e32 vcc_lo, s49, v0
	s_delay_alu instid0(VALU_DEP_3) | instskip(NEXT) | instid1(VALU_DEP_3)
	v_add_nc_u32_e32 v12, 1, v1
	v_xor_b32_e32 v11, s56, v11
	s_delay_alu instid0(VALU_DEP_2) | instskip(NEXT) | instid1(VALU_DEP_1)
	v_cndmask_b32_e32 v0, v1, v12, vcc_lo
	v_xor_b32_e32 v0, v0, v11
	s_delay_alu instid0(VALU_DEP_1) | instskip(NEXT) | instid1(VALU_DEP_1)
	v_sub_nc_u32_e32 v0, v0, v11
	v_sub_nc_u32_e32 v1, 0, v0
	s_delay_alu instid0(VALU_DEP_1) | instskip(NEXT) | instid1(VALU_DEP_1)
	v_max_i32_e32 v1, v0, v1
	v_mul_hi_u32 v11, v1, v5
	s_delay_alu instid0(VALU_DEP_1) | instskip(NEXT) | instid1(VALU_DEP_1)
	v_mul_lo_u32 v12, v11, s50
	v_sub_nc_u32_e32 v1, v1, v12
	s_delay_alu instid0(VALU_DEP_1) | instskip(SKIP_1) | instid1(VALU_DEP_2)
	v_subrev_nc_u32_e32 v13, s50, v1
	v_cmp_le_u32_e32 vcc_lo, s50, v1
	v_dual_cndmask_b32 v1, v1, v13 :: v_dual_add_nc_u32 v12, 1, v11
	s_delay_alu instid0(VALU_DEP_1) | instskip(SKIP_1) | instid1(VALU_DEP_3)
	v_cndmask_b32_e32 v11, v11, v12, vcc_lo
	v_ashrrev_i32_e32 v12, 31, v0
	v_cmp_le_u32_e32 vcc_lo, s50, v1
	s_delay_alu instid0(VALU_DEP_3) | instskip(NEXT) | instid1(VALU_DEP_3)
	v_add_nc_u32_e32 v13, 1, v11
	v_xor_b32_e32 v12, s57, v12
	s_delay_alu instid0(VALU_DEP_2) | instskip(NEXT) | instid1(VALU_DEP_1)
	v_cndmask_b32_e32 v1, v11, v13, vcc_lo
	v_xor_b32_e32 v1, v1, v12
	s_delay_alu instid0(VALU_DEP_1) | instskip(NEXT) | instid1(VALU_DEP_1)
	v_sub_nc_u32_e32 v1, v1, v12
	v_sub_nc_u32_e32 v11, 0, v1
	s_delay_alu instid0(VALU_DEP_1) | instskip(NEXT) | instid1(VALU_DEP_1)
	v_max_i32_e32 v11, v1, v11
	v_mul_hi_u32 v12, v11, v6
	s_delay_alu instid0(VALU_DEP_1) | instskip(NEXT) | instid1(VALU_DEP_1)
	v_mul_lo_u32 v13, v12, s51
	v_sub_nc_u32_e32 v11, v11, v13
	v_add_nc_u32_e32 v13, 1, v12
	s_delay_alu instid0(VALU_DEP_2) | instskip(SKIP_1) | instid1(VALU_DEP_2)
	v_subrev_nc_u32_e32 v14, s51, v11
	v_cmp_le_u32_e32 vcc_lo, s51, v11
	v_dual_cndmask_b32 v12, v12, v13 :: v_dual_cndmask_b32 v11, v11, v14
	v_ashrrev_i32_e32 v13, 31, v1
	s_delay_alu instid0(VALU_DEP_2) | instskip(NEXT) | instid1(VALU_DEP_3)
	v_add_nc_u32_e32 v14, 1, v12
	v_cmp_le_u32_e32 vcc_lo, s51, v11
	s_delay_alu instid0(VALU_DEP_3) | instskip(NEXT) | instid1(VALU_DEP_3)
	v_xor_b32_e32 v13, s58, v13
	v_cndmask_b32_e32 v11, v12, v14, vcc_lo
	s_delay_alu instid0(VALU_DEP_1) | instskip(NEXT) | instid1(VALU_DEP_1)
	v_xor_b32_e32 v11, v11, v13
	v_sub_nc_u32_e32 v11, v11, v13
	s_delay_alu instid0(VALU_DEP_1) | instskip(NEXT) | instid1(VALU_DEP_1)
	v_sub_nc_u32_e32 v12, 0, v11
	v_max_i32_e32 v12, v11, v12
	s_delay_alu instid0(VALU_DEP_1) | instskip(NEXT) | instid1(VALU_DEP_1)
	v_mul_hi_u32 v13, v12, v7
	v_mul_lo_u32 v14, v13, s33
	s_delay_alu instid0(VALU_DEP_1) | instskip(SKIP_1) | instid1(VALU_DEP_2)
	v_sub_nc_u32_e32 v12, v12, v14
	v_add_nc_u32_e32 v14, 1, v13
	v_subrev_nc_u32_e32 v15, s33, v12
	v_cmp_le_u32_e32 vcc_lo, s33, v12
	s_delay_alu instid0(VALU_DEP_2) | instskip(SKIP_1) | instid1(VALU_DEP_2)
	v_dual_cndmask_b32 v13, v13, v14 :: v_dual_cndmask_b32 v12, v12, v15
	v_ashrrev_i32_e32 v14, 31, v11
	v_add_nc_u32_e32 v15, 1, v13
	s_delay_alu instid0(VALU_DEP_3) | instskip(NEXT) | instid1(VALU_DEP_3)
	v_cmp_le_u32_e32 vcc_lo, s33, v12
	v_xor_b32_e32 v14, s16, v14
	s_delay_alu instid0(VALU_DEP_3) | instskip(SKIP_1) | instid1(VALU_DEP_2)
	v_cndmask_b32_e32 v12, v13, v15, vcc_lo
	v_mul_lo_u32 v15, v11, s18
	v_xor_b32_e32 v12, v12, v14
	s_delay_alu instid0(VALU_DEP_1) | instskip(SKIP_1) | instid1(VALU_DEP_2)
	v_sub_nc_u32_e32 v16, v12, v14
	v_mul_lo_u32 v14, v1, s19
	v_mul_lo_u32 v12, v16, s17
	s_delay_alu instid0(VALU_DEP_1) | instskip(SKIP_1) | instid1(VALU_DEP_2)
	v_sub_nc_u32_e32 v13, v11, v12
	v_mul_lo_u32 v12, v0, s6
	v_mul_lo_u32 v17, v13, s45
	s_delay_alu instid0(VALU_DEP_2) | instskip(SKIP_2) | instid1(VALU_DEP_4)
	v_sub_nc_u32_e32 v11, v2, v12
	v_sub_nc_u32_e32 v12, v0, v14
	;; [unrolled: 1-line block ×3, first 2 shown]
	v_dual_mov_b32 v15, 0 :: v_dual_add_nc_u32 v18, s45, v17
	s_delay_alu instid0(VALU_DEP_1)
	v_cmpx_lt_i32_e64 v17, v18
	s_cbranch_execz .LBB31_3
; %bb.5:                                ;   in Loop: Header=BB31_4 Depth=1
	s_waitcnt lgkmcnt(0)
	v_mul_lo_u32 v0, s27, v17
	v_mul_lo_u32 v22, s38, v16
	v_add_nc_u32_e32 v19, s13, v11
	v_dual_mov_b32 v15, 0 :: v_dual_add_nc_u32 v20, s12, v12
	v_add_nc_u32_e32 v21, s11, v14
	s_mov_b32 s63, 0
	v_ashrrev_i32_e32 v1, 31, v0
	v_ashrrev_i32_e32 v23, 31, v22
	s_delay_alu instid0(VALU_DEP_2) | instskip(NEXT) | instid1(VALU_DEP_2)
	v_lshlrev_b64 v[0:1], 1, v[0:1]
	v_lshlrev_b64 v[22:23], 1, v[22:23]
	s_delay_alu instid0(VALU_DEP_2) | instskip(NEXT) | instid1(VALU_DEP_3)
	v_add_co_u32 v0, vcc_lo, s42, v0
	v_add_co_ci_u32_e32 v1, vcc_lo, s43, v1, vcc_lo
	s_delay_alu instid0(VALU_DEP_3) | instskip(NEXT) | instid1(VALU_DEP_4)
	v_add_co_u32 v22, vcc_lo, s36, v22
	v_add_co_ci_u32_e32 v23, vcc_lo, s37, v23, vcc_lo
	s_branch .LBB31_7
.LBB31_6:                               ;   in Loop: Header=BB31_7 Depth=2
	v_add_nc_u32_e32 v17, 1, v17
	s_delay_alu instid0(VALU_DEP_1) | instskip(SKIP_1) | instid1(SALU_CYCLE_1)
	v_cmp_eq_u32_e32 vcc_lo, v17, v18
	s_or_b32 s63, vcc_lo, s63
	s_and_not1_b32 exec_lo, exec_lo, s63
	s_cbranch_execz .LBB31_2
.LBB31_7:                               ;   Parent Loop BB31_4 Depth=1
                                        ; =>  This Loop Header: Depth=2
                                        ;       Child Loop BB31_10 Depth 3
                                        ;         Child Loop BB31_13 Depth 4
                                        ;           Child Loop BB31_16 Depth 5
	s_and_not1_b32 vcc_lo, exec_lo, s46
	s_cbranch_vccnz .LBB31_6
; %bb.8:                                ;   in Loop: Header=BB31_7 Depth=2
	v_mul_lo_u32 v24, s39, v17
	s_mov_b32 s64, 0
	s_delay_alu instid0(VALU_DEP_1) | instskip(NEXT) | instid1(VALU_DEP_1)
	v_ashrrev_i32_e32 v25, 31, v24
	v_lshlrev_b64 v[24:25], 1, v[24:25]
	s_delay_alu instid0(VALU_DEP_1) | instskip(NEXT) | instid1(VALU_DEP_2)
	v_add_co_u32 v24, vcc_lo, v22, v24
	v_add_co_ci_u32_e32 v25, vcc_lo, v23, v25, vcc_lo
	s_branch .LBB31_10
.LBB31_9:                               ;   in Loop: Header=BB31_10 Depth=3
	s_add_i32 s64, s64, 1
	s_delay_alu instid0(SALU_CYCLE_1)
	s_cmp_eq_u32 s64, s24
	s_cbranch_scc1 .LBB31_6
.LBB31_10:                              ;   Parent Loop BB31_4 Depth=1
                                        ;     Parent Loop BB31_7 Depth=2
                                        ; =>    This Loop Header: Depth=3
                                        ;         Child Loop BB31_13 Depth 4
                                        ;           Child Loop BB31_16 Depth 5
	s_and_not1_b32 vcc_lo, exec_lo, s47
	s_cbranch_vccnz .LBB31_9
; %bb.11:                               ;   in Loop: Header=BB31_10 Depth=3
	s_mul_i32 s0, s64, s14
	s_mov_b32 s65, 0
	v_subrev_nc_u32_e32 v27, s0, v21
	s_delay_alu instid0(VALU_DEP_1) | instskip(NEXT) | instid1(VALU_DEP_1)
	v_sub_nc_u32_e32 v26, 0, v27
	v_max_i32_e32 v26, v27, v26
	s_delay_alu instid0(VALU_DEP_1) | instskip(NEXT) | instid1(VALU_DEP_1)
	v_mul_hi_u32 v28, v26, v8
	v_mul_lo_u32 v29, v28, s52
	s_delay_alu instid0(VALU_DEP_1) | instskip(NEXT) | instid1(VALU_DEP_1)
	v_sub_nc_u32_e32 v26, v26, v29
	v_subrev_nc_u32_e32 v30, s52, v26
	v_cmp_le_u32_e32 vcc_lo, s52, v26
	s_delay_alu instid0(VALU_DEP_2) | instskip(NEXT) | instid1(VALU_DEP_1)
	v_dual_cndmask_b32 v26, v26, v30 :: v_dual_add_nc_u32 v29, 1, v28
	v_cndmask_b32_e32 v28, v28, v29, vcc_lo
	v_ashrrev_i32_e32 v29, 31, v27
	s_delay_alu instid0(VALU_DEP_3) | instskip(NEXT) | instid1(VALU_DEP_3)
	v_cmp_le_u32_e32 vcc_lo, s52, v26
	v_add_nc_u32_e32 v30, 1, v28
	s_delay_alu instid0(VALU_DEP_3) | instskip(NEXT) | instid1(VALU_DEP_2)
	v_xor_b32_e32 v29, s59, v29
	v_cndmask_b32_e32 v26, v28, v30, vcc_lo
	s_delay_alu instid0(VALU_DEP_1) | instskip(NEXT) | instid1(VALU_DEP_1)
	v_xor_b32_e32 v26, v26, v29
	v_sub_nc_u32_e32 v28, v26, v29
	s_delay_alu instid0(VALU_DEP_1) | instskip(SKIP_3) | instid1(VALU_DEP_4)
	v_mul_lo_u32 v29, v28, s8
	v_mul_lo_u32 v26, v28, s22
	v_cmp_lt_i32_e64 s0, -1, v28
	v_cmp_gt_i32_e64 s1, s21, v28
	v_cmp_eq_u32_e64 s2, v29, v27
	s_branch .LBB31_13
.LBB31_12:                              ;   in Loop: Header=BB31_13 Depth=4
	s_add_i32 s65, s65, 1
	s_delay_alu instid0(SALU_CYCLE_1)
	s_cmp_eq_u32 s65, s25
	s_cbranch_scc1 .LBB31_9
.LBB31_13:                              ;   Parent Loop BB31_4 Depth=1
                                        ;     Parent Loop BB31_7 Depth=2
                                        ;       Parent Loop BB31_10 Depth=3
                                        ; =>      This Loop Header: Depth=4
                                        ;           Child Loop BB31_16 Depth 5
	s_and_not1_b32 vcc_lo, exec_lo, s48
	s_cbranch_vccnz .LBB31_12
; %bb.14:                               ;   in Loop: Header=BB31_13 Depth=4
	s_mul_i32 s3, s65, s15
	s_mov_b32 s67, s26
	v_subrev_nc_u32_e32 v28, s3, v20
	s_delay_alu instid0(VALU_DEP_1) | instskip(NEXT) | instid1(VALU_DEP_1)
	v_sub_nc_u32_e32 v27, 0, v28
	v_max_i32_e32 v27, v28, v27
	s_delay_alu instid0(VALU_DEP_1) | instskip(NEXT) | instid1(VALU_DEP_1)
	v_mul_hi_u32 v29, v27, v9
	v_mul_lo_u32 v30, v29, s53
	s_delay_alu instid0(VALU_DEP_1) | instskip(NEXT) | instid1(VALU_DEP_1)
	v_sub_nc_u32_e32 v27, v27, v30
	v_subrev_nc_u32_e32 v31, s53, v27
	v_cmp_le_u32_e32 vcc_lo, s53, v27
	s_delay_alu instid0(VALU_DEP_2) | instskip(NEXT) | instid1(VALU_DEP_1)
	v_dual_cndmask_b32 v27, v27, v31 :: v_dual_add_nc_u32 v30, 1, v29
	v_cndmask_b32_e32 v29, v29, v30, vcc_lo
	v_ashrrev_i32_e32 v30, 31, v28
	s_delay_alu instid0(VALU_DEP_3) | instskip(NEXT) | instid1(VALU_DEP_3)
	v_cmp_le_u32_e32 vcc_lo, s53, v27
	v_add_nc_u32_e32 v31, 1, v29
	s_delay_alu instid0(VALU_DEP_3) | instskip(NEXT) | instid1(VALU_DEP_2)
	v_xor_b32_e32 v30, s60, v30
	v_cndmask_b32_e32 v27, v29, v31, vcc_lo
	s_delay_alu instid0(VALU_DEP_1) | instskip(NEXT) | instid1(VALU_DEP_1)
	v_xor_b32_e32 v27, v27, v30
	v_sub_nc_u32_e32 v29, v27, v30
	s_delay_alu instid0(VALU_DEP_1) | instskip(SKIP_3) | instid1(VALU_DEP_3)
	v_mul_lo_u32 v30, v29, s9
	v_add_nc_u32_e32 v27, v29, v26
	v_cmp_lt_i32_e32 vcc_lo, -1, v29
	v_cmp_gt_i32_e64 s3, s22, v29
	v_mul_lo_u32 v27, v27, s23
	v_cmp_eq_u32_e64 s4, v30, v28
	v_mov_b32_e32 v28, v19
	s_delay_alu instid0(VALU_DEP_2)
	s_and_b32 s66, s2, s4
	s_branch .LBB31_16
.LBB31_15:                              ;   in Loop: Header=BB31_16 Depth=5
	s_or_b32 exec_lo, exec_lo, s5
	v_mul_lo_u32 v30, v30, s10
	s_waitcnt vmcnt(0)
	v_lshlrev_b32_e32 v29, 16, v29
	v_add_co_u32 v0, s5, v0, 2
	s_delay_alu instid0(VALU_DEP_1) | instskip(NEXT) | instid1(VALU_DEP_3)
	v_add_co_ci_u32_e64 v1, s5, 0, v1, s5
	v_fma_f32 v29, v31, v29, v15
	s_add_i32 s67, s67, -1
	v_cmp_eq_u32_e64 s4, v28, v30
	v_subrev_nc_u32_e32 v28, s20, v28
	s_delay_alu instid0(VALU_DEP_2)
	s_and_b32 s4, s66, s4
	s_cmp_eq_u32 s67, 0
	v_cndmask_b32_e64 v15, v15, v29, s4
	s_cbranch_scc1 .LBB31_12
.LBB31_16:                              ;   Parent Loop BB31_4 Depth=1
                                        ;     Parent Loop BB31_7 Depth=2
                                        ;       Parent Loop BB31_10 Depth=3
                                        ;         Parent Loop BB31_13 Depth=4
                                        ; =>        This Inner Loop Header: Depth=5
	global_load_u16 v29, v[0:1], off
	v_sub_nc_u32_e32 v30, 0, v28
	s_delay_alu instid0(VALU_DEP_1) | instskip(NEXT) | instid1(VALU_DEP_1)
	v_max_i32_e32 v30, v28, v30
	v_mul_hi_u32 v31, v30, v10
	s_delay_alu instid0(VALU_DEP_1) | instskip(NEXT) | instid1(VALU_DEP_1)
	v_mul_lo_u32 v32, v31, s54
	v_sub_nc_u32_e32 v30, v30, v32
	v_add_nc_u32_e32 v32, 1, v31
	s_delay_alu instid0(VALU_DEP_2) | instskip(SKIP_1) | instid1(VALU_DEP_1)
	v_subrev_nc_u32_e32 v33, s54, v30
	v_cmp_le_u32_e64 s4, s54, v30
	v_cndmask_b32_e64 v31, v31, v32, s4
	s_delay_alu instid0(VALU_DEP_3) | instskip(SKIP_1) | instid1(VALU_DEP_3)
	v_cndmask_b32_e64 v30, v30, v33, s4
	v_ashrrev_i32_e32 v32, 31, v28
	v_add_nc_u32_e32 v33, 1, v31
	s_delay_alu instid0(VALU_DEP_3) | instskip(NEXT) | instid1(VALU_DEP_3)
	v_cmp_le_u32_e64 s4, s54, v30
	v_xor_b32_e32 v32, s61, v32
	s_delay_alu instid0(VALU_DEP_2) | instskip(SKIP_1) | instid1(VALU_DEP_2)
	v_cndmask_b32_e64 v30, v31, v33, s4
	v_mov_b32_e32 v31, 0
	v_xor_b32_e32 v30, v30, v32
	s_delay_alu instid0(VALU_DEP_1) | instskip(NEXT) | instid1(VALU_DEP_1)
	v_sub_nc_u32_e32 v30, v30, v32
	v_cmp_lt_i32_e64 s4, -1, v30
	v_cmp_gt_i32_e64 s5, s23, v30
	s_delay_alu instid0(VALU_DEP_2) | instskip(NEXT) | instid1(SALU_CYCLE_1)
	s_and_b32 s4, s4, vcc_lo
	s_and_b32 s4, s4, s0
	s_delay_alu instid0(VALU_DEP_1) | instid1(SALU_CYCLE_1)
	s_and_b32 s4, s5, s4
	s_delay_alu instid0(SALU_CYCLE_1) | instskip(NEXT) | instid1(SALU_CYCLE_1)
	s_and_b32 s4, s4, s3
	s_and_b32 s4, s4, s1
	s_delay_alu instid0(SALU_CYCLE_1)
	s_and_saveexec_b32 s5, s4
	s_cbranch_execz .LBB31_15
; %bb.17:                               ;   in Loop: Header=BB31_16 Depth=5
	v_add_nc_u32_e32 v31, v30, v27
	s_delay_alu instid0(VALU_DEP_1) | instskip(NEXT) | instid1(VALU_DEP_1)
	v_ashrrev_i32_e32 v32, 31, v31
	v_lshlrev_b64 v[31:32], 1, v[31:32]
	s_delay_alu instid0(VALU_DEP_1) | instskip(NEXT) | instid1(VALU_DEP_1)
	v_add_co_u32 v31, s4, v24, v31
	v_add_co_ci_u32_e64 v32, s4, v25, v32, s4
	global_load_u16 v31, v[31:32], off
	s_waitcnt vmcnt(0)
	v_lshlrev_b32_e32 v31, 16, v31
	s_branch .LBB31_15
.LBB31_18:
	s_nop 0
	s_sendmsg sendmsg(MSG_DEALLOC_VGPRS)
	s_endpgm
	.section	.rodata,"a",@progbits
	.p2align	6, 0x0
	.amdhsa_kernel _ZN2at6native12_GLOBAL__N_143conv_depthwise3d_cuda_backward_input_kernelIN3c108BFloat16EfLin1ELin1ELin1ELin1ELin1ELin1ELin1ELin1ELin1EEEvN5torch10headeronly6detail27GenericPackedTensorAccessorINS7_14TensorAccessorINS3_8ArrayRefIlEEKT_Lm4ENS6_16DefaultPtrTraitsEiEENS_6detail16IndexBoundsCheckILm5EiEESD_Lm5ESE_iEENS8_INS9_ISB_SC_Lm4ESE_iEESI_SC_Lm5ESE_iEESJ_iiiiiiiii
		.amdhsa_group_segment_fixed_size 0
		.amdhsa_private_segment_fixed_size 0
		.amdhsa_kernarg_size 440
		.amdhsa_user_sgpr_count 15
		.amdhsa_user_sgpr_dispatch_ptr 0
		.amdhsa_user_sgpr_queue_ptr 0
		.amdhsa_user_sgpr_kernarg_segment_ptr 1
		.amdhsa_user_sgpr_dispatch_id 0
		.amdhsa_user_sgpr_private_segment_size 0
		.amdhsa_wavefront_size32 1
		.amdhsa_uses_dynamic_stack 0
		.amdhsa_enable_private_segment 0
		.amdhsa_system_sgpr_workgroup_id_x 1
		.amdhsa_system_sgpr_workgroup_id_y 0
		.amdhsa_system_sgpr_workgroup_id_z 0
		.amdhsa_system_sgpr_workgroup_info 0
		.amdhsa_system_vgpr_workitem_id 0
		.amdhsa_next_free_vgpr 34
		.amdhsa_next_free_sgpr 68
		.amdhsa_reserve_vcc 1
		.amdhsa_float_round_mode_32 0
		.amdhsa_float_round_mode_16_64 0
		.amdhsa_float_denorm_mode_32 3
		.amdhsa_float_denorm_mode_16_64 3
		.amdhsa_dx10_clamp 1
		.amdhsa_ieee_mode 1
		.amdhsa_fp16_overflow 0
		.amdhsa_workgroup_processor_mode 1
		.amdhsa_memory_ordered 1
		.amdhsa_forward_progress 0
		.amdhsa_shared_vgpr_count 0
		.amdhsa_exception_fp_ieee_invalid_op 0
		.amdhsa_exception_fp_denorm_src 0
		.amdhsa_exception_fp_ieee_div_zero 0
		.amdhsa_exception_fp_ieee_overflow 0
		.amdhsa_exception_fp_ieee_underflow 0
		.amdhsa_exception_fp_ieee_inexact 0
		.amdhsa_exception_int_div_zero 0
	.end_amdhsa_kernel
	.section	.text._ZN2at6native12_GLOBAL__N_143conv_depthwise3d_cuda_backward_input_kernelIN3c108BFloat16EfLin1ELin1ELin1ELin1ELin1ELin1ELin1ELin1ELin1EEEvN5torch10headeronly6detail27GenericPackedTensorAccessorINS7_14TensorAccessorINS3_8ArrayRefIlEEKT_Lm4ENS6_16DefaultPtrTraitsEiEENS_6detail16IndexBoundsCheckILm5EiEESD_Lm5ESE_iEENS8_INS9_ISB_SC_Lm4ESE_iEESI_SC_Lm5ESE_iEESJ_iiiiiiiii,"axG",@progbits,_ZN2at6native12_GLOBAL__N_143conv_depthwise3d_cuda_backward_input_kernelIN3c108BFloat16EfLin1ELin1ELin1ELin1ELin1ELin1ELin1ELin1ELin1EEEvN5torch10headeronly6detail27GenericPackedTensorAccessorINS7_14TensorAccessorINS3_8ArrayRefIlEEKT_Lm4ENS6_16DefaultPtrTraitsEiEENS_6detail16IndexBoundsCheckILm5EiEESD_Lm5ESE_iEENS8_INS9_ISB_SC_Lm4ESE_iEESI_SC_Lm5ESE_iEESJ_iiiiiiiii,comdat
.Lfunc_end31:
	.size	_ZN2at6native12_GLOBAL__N_143conv_depthwise3d_cuda_backward_input_kernelIN3c108BFloat16EfLin1ELin1ELin1ELin1ELin1ELin1ELin1ELin1ELin1EEEvN5torch10headeronly6detail27GenericPackedTensorAccessorINS7_14TensorAccessorINS3_8ArrayRefIlEEKT_Lm4ENS6_16DefaultPtrTraitsEiEENS_6detail16IndexBoundsCheckILm5EiEESD_Lm5ESE_iEENS8_INS9_ISB_SC_Lm4ESE_iEESI_SC_Lm5ESE_iEESJ_iiiiiiiii, .Lfunc_end31-_ZN2at6native12_GLOBAL__N_143conv_depthwise3d_cuda_backward_input_kernelIN3c108BFloat16EfLin1ELin1ELin1ELin1ELin1ELin1ELin1ELin1ELin1EEEvN5torch10headeronly6detail27GenericPackedTensorAccessorINS7_14TensorAccessorINS3_8ArrayRefIlEEKT_Lm4ENS6_16DefaultPtrTraitsEiEENS_6detail16IndexBoundsCheckILm5EiEESD_Lm5ESE_iEENS8_INS9_ISB_SC_Lm4ESE_iEESI_SC_Lm5ESE_iEESJ_iiiiiiiii
                                        ; -- End function
	.section	.AMDGPU.csdata,"",@progbits
; Kernel info:
; codeLenInByte = 2400
; NumSgprs: 70
; NumVgprs: 34
; ScratchSize: 0
; MemoryBound: 0
; FloatMode: 240
; IeeeMode: 1
; LDSByteSize: 0 bytes/workgroup (compile time only)
; SGPRBlocks: 8
; VGPRBlocks: 4
; NumSGPRsForWavesPerEU: 70
; NumVGPRsForWavesPerEU: 34
; Occupancy: 16
; WaveLimiterHint : 0
; COMPUTE_PGM_RSRC2:SCRATCH_EN: 0
; COMPUTE_PGM_RSRC2:USER_SGPR: 15
; COMPUTE_PGM_RSRC2:TRAP_HANDLER: 0
; COMPUTE_PGM_RSRC2:TGID_X_EN: 1
; COMPUTE_PGM_RSRC2:TGID_Y_EN: 0
; COMPUTE_PGM_RSRC2:TGID_Z_EN: 0
; COMPUTE_PGM_RSRC2:TIDIG_COMP_CNT: 0
	.section	.text._ZN2at6native12_GLOBAL__N_144conv_depthwise3d_cuda_backward_weight_kernelIddLi1ELi1EEEvN5torch10headeronly6detail27GenericPackedTensorAccessorINS5_14TensorAccessorIN3c108ArrayRefIlEEKT_Lm4ENS4_16DefaultPtrTraitsEiEENS_6detail16IndexBoundsCheckILm5EiEESC_Lm5ESD_iEESI_NS6_INS7_ISA_SB_Lm4ESD_iEESH_SB_Lm5ESD_iEEiiiiiiiii,"axG",@progbits,_ZN2at6native12_GLOBAL__N_144conv_depthwise3d_cuda_backward_weight_kernelIddLi1ELi1EEEvN5torch10headeronly6detail27GenericPackedTensorAccessorINS5_14TensorAccessorIN3c108ArrayRefIlEEKT_Lm4ENS4_16DefaultPtrTraitsEiEENS_6detail16IndexBoundsCheckILm5EiEESC_Lm5ESD_iEESI_NS6_INS7_ISA_SB_Lm4ESD_iEESH_SB_Lm5ESD_iEEiiiiiiiii,comdat
	.globl	_ZN2at6native12_GLOBAL__N_144conv_depthwise3d_cuda_backward_weight_kernelIddLi1ELi1EEEvN5torch10headeronly6detail27GenericPackedTensorAccessorINS5_14TensorAccessorIN3c108ArrayRefIlEEKT_Lm4ENS4_16DefaultPtrTraitsEiEENS_6detail16IndexBoundsCheckILm5EiEESC_Lm5ESD_iEESI_NS6_INS7_ISA_SB_Lm4ESD_iEESH_SB_Lm5ESD_iEEiiiiiiiii ; -- Begin function _ZN2at6native12_GLOBAL__N_144conv_depthwise3d_cuda_backward_weight_kernelIddLi1ELi1EEEvN5torch10headeronly6detail27GenericPackedTensorAccessorINS5_14TensorAccessorIN3c108ArrayRefIlEEKT_Lm4ENS4_16DefaultPtrTraitsEiEENS_6detail16IndexBoundsCheckILm5EiEESC_Lm5ESD_iEESI_NS6_INS7_ISA_SB_Lm4ESD_iEESH_SB_Lm5ESD_iEEiiiiiiiii
	.p2align	8
	.type	_ZN2at6native12_GLOBAL__N_144conv_depthwise3d_cuda_backward_weight_kernelIddLi1ELi1EEEvN5torch10headeronly6detail27GenericPackedTensorAccessorINS5_14TensorAccessorIN3c108ArrayRefIlEEKT_Lm4ENS4_16DefaultPtrTraitsEiEENS_6detail16IndexBoundsCheckILm5EiEESC_Lm5ESD_iEESI_NS6_INS7_ISA_SB_Lm4ESD_iEESH_SB_Lm5ESD_iEEiiiiiiiii,@function
_ZN2at6native12_GLOBAL__N_144conv_depthwise3d_cuda_backward_weight_kernelIddLi1ELi1EEEvN5torch10headeronly6detail27GenericPackedTensorAccessorINS5_14TensorAccessorIN3c108ArrayRefIlEEKT_Lm4ENS4_16DefaultPtrTraitsEiEENS_6detail16IndexBoundsCheckILm5EiEESC_Lm5ESD_iEESI_NS6_INS7_ISA_SB_Lm4ESD_iEESH_SB_Lm5ESD_iEEiiiiiiiii: ; @_ZN2at6native12_GLOBAL__N_144conv_depthwise3d_cuda_backward_weight_kernelIddLi1ELi1EEEvN5torch10headeronly6detail27GenericPackedTensorAccessorINS5_14TensorAccessorIN3c108ArrayRefIlEEKT_Lm4ENS4_16DefaultPtrTraitsEiEENS_6detail16IndexBoundsCheckILm5EiEESC_Lm5ESD_iEESI_NS6_INS7_ISA_SB_Lm4ESD_iEESH_SB_Lm5ESD_iEEiiiiiiiii
; %bb.0:
	s_load_b128 s[4:7], s[0:1], 0x70
	s_add_u32 s2, s0, 0x60
	s_addc_u32 s3, s1, 0
	s_clause 0x1
	s_load_b128 s[16:19], s[0:1], 0x3c
	s_load_b128 s[20:23], s[0:1], 0xc
	s_waitcnt lgkmcnt(0)
	v_cvt_f32_u32_e32 v1, s6
	v_cvt_f32_u32_e32 v2, s5
	s_sub_i32 s9, 0, s6
	s_delay_alu instid0(VALU_DEP_2) | instskip(NEXT) | instid1(VALU_DEP_1)
	v_rcp_iflag_f32_e32 v1, v1
	v_rcp_iflag_f32_e32 v2, v2
	s_waitcnt_depctr 0xfff
	v_dual_mul_f32 v1, 0x4f7ffffe, v1 :: v_dual_mul_f32 v2, 0x4f7ffffe, v2
	s_delay_alu instid0(VALU_DEP_1) | instskip(NEXT) | instid1(VALU_DEP_2)
	v_cvt_u32_f32_e32 v1, v1
	v_cvt_u32_f32_e32 v2, v2
	s_delay_alu instid0(VALU_DEP_2) | instskip(SKIP_1) | instid1(VALU_DEP_3)
	v_readfirstlane_b32 s8, v1
	v_cvt_f32_u32_e32 v1, s4
	v_readfirstlane_b32 s13, v2
	s_delay_alu instid0(VALU_DEP_3) | instskip(NEXT) | instid1(VALU_DEP_2)
	s_mul_i32 s9, s9, s8
	v_rcp_iflag_f32_e32 v1, v1
	s_mul_hi_u32 s9, s8, s9
	s_delay_alu instid0(SALU_CYCLE_1) | instskip(NEXT) | instid1(SALU_CYCLE_1)
	s_add_i32 s8, s8, s9
	s_mul_hi_u32 s8, s15, s8
	s_delay_alu instid0(SALU_CYCLE_1)
	s_mul_i32 s9, s8, s6
	s_add_i32 s10, s8, 1
	s_sub_i32 s9, s15, s9
	s_waitcnt_depctr 0xfff
	v_mul_f32_e32 v1, 0x4f7ffffe, v1
	s_sub_i32 s11, s9, s6
	s_cmp_ge_u32 s9, s6
	s_cselect_b32 s8, s10, s8
	s_cselect_b32 s9, s11, s9
	s_add_i32 s10, s8, 1
	s_cmp_ge_u32 s9, s6
	v_cvt_u32_f32_e32 v1, v1
	s_cselect_b32 s12, s10, s8
	s_sub_i32 s8, 0, s5
	s_delay_alu instid0(SALU_CYCLE_1) | instskip(NEXT) | instid1(VALU_DEP_1)
	s_mul_i32 s8, s8, s13
	v_readfirstlane_b32 s14, v1
	s_mul_hi_u32 s8, s13, s8
	s_delay_alu instid0(SALU_CYCLE_1) | instskip(NEXT) | instid1(SALU_CYCLE_1)
	s_add_i32 s13, s13, s8
	s_mul_hi_u32 s8, s12, s13
	s_delay_alu instid0(SALU_CYCLE_1) | instskip(SKIP_2) | instid1(SALU_CYCLE_1)
	s_mul_i32 s9, s8, s5
	s_add_i32 s10, s8, 1
	s_sub_i32 s9, s12, s9
	s_sub_i32 s11, s9, s5
	s_cmp_ge_u32 s9, s5
	s_cselect_b32 s8, s10, s8
	s_cselect_b32 s9, s11, s9
	s_add_i32 s10, s8, 1
	s_cmp_ge_u32 s9, s5
	s_cselect_b32 s13, s10, s8
	s_sub_i32 s8, 0, s4
	s_delay_alu instid0(SALU_CYCLE_1) | instskip(NEXT) | instid1(SALU_CYCLE_1)
	s_mul_i32 s8, s8, s14
	s_mul_hi_u32 s8, s14, s8
	s_delay_alu instid0(SALU_CYCLE_1) | instskip(NEXT) | instid1(SALU_CYCLE_1)
	s_add_i32 s14, s14, s8
	s_mul_hi_u32 s8, s13, s14
	s_delay_alu instid0(SALU_CYCLE_1) | instskip(SKIP_2) | instid1(SALU_CYCLE_1)
	s_mul_i32 s9, s8, s4
	s_add_i32 s10, s8, 1
	s_sub_i32 s9, s13, s9
	s_sub_i32 s11, s9, s4
	s_cmp_ge_u32 s9, s4
	s_cselect_b32 s8, s10, s8
	s_cselect_b32 s9, s11, s9
	s_add_i32 s10, s8, 1
	s_cmp_ge_u32 s9, s4
	s_cselect_b32 s33, s10, s8
	s_abs_i32 s8, s16
	s_abs_i32 s11, s20
	v_cvt_f32_u32_e32 v1, s8
	s_sub_i32 s10, 0, s8
	s_delay_alu instid0(VALU_DEP_1) | instskip(SKIP_2) | instid1(VALU_DEP_1)
	v_rcp_iflag_f32_e32 v1, v1
	s_waitcnt_depctr 0xfff
	v_mul_f32_e32 v1, 0x4f7ffffe, v1
	v_cvt_u32_f32_e32 v1, v1
	s_delay_alu instid0(VALU_DEP_1) | instskip(NEXT) | instid1(VALU_DEP_1)
	v_readfirstlane_b32 s9, v1
	s_mul_i32 s10, s10, s9
	s_delay_alu instid0(SALU_CYCLE_1) | instskip(NEXT) | instid1(SALU_CYCLE_1)
	s_mul_hi_u32 s10, s9, s10
	s_add_i32 s9, s9, s10
	s_xor_b32 s10, s20, s16
	s_mul_hi_u32 s9, s11, s9
	s_ashr_i32 s10, s10, 31
	s_mul_i32 s14, s9, s8
	s_delay_alu instid0(SALU_CYCLE_1)
	s_sub_i32 s11, s11, s14
	s_add_i32 s14, s9, 1
	s_sub_i32 s16, s11, s8
	s_cmp_ge_u32 s11, s8
	s_cselect_b32 s9, s14, s9
	s_cselect_b32 s11, s16, s11
	s_add_i32 s14, s9, 1
	s_cmp_ge_u32 s11, s8
	s_cselect_b32 s8, s14, s9
	s_delay_alu instid0(SALU_CYCLE_1) | instskip(NEXT) | instid1(SALU_CYCLE_1)
	s_xor_b32 s8, s8, s10
	s_sub_i32 s14, s8, s10
	s_load_b32 s8, s[0:1], 0x68
	s_abs_i32 s38, s14
	s_delay_alu instid0(SALU_CYCLE_1) | instskip(NEXT) | instid1(VALU_DEP_1)
	v_cvt_f32_u32_e32 v1, s38
	v_rcp_iflag_f32_e32 v1, v1
	s_waitcnt_depctr 0xfff
	v_mul_f32_e32 v1, 0x4f7ffffe, v1
	s_waitcnt lgkmcnt(0)
	s_cmp_ge_i32 s33, s8
	s_delay_alu instid0(VALU_DEP_1) | instskip(NEXT) | instid1(VALU_DEP_1)
	v_cvt_u32_f32_e32 v1, v1
	v_readfirstlane_b32 s24, v1
	s_cbranch_scc1 .LBB32_28
; %bb.1:
	s_clause 0x1
	s_load_b32 s20, s[0:1], 0x38
	s_load_b32 s16, s[0:1], 0xc4
	s_clause 0x1
	s_load_b64 s[34:35], s[2:3], 0x0
	s_load_b128 s[8:11], s[2:3], 0x24
	s_mul_i32 s2, s12, s6
	v_mov_b32_e32 v1, 0
	v_lshrrev_b32_e32 v10, 5, v0
	v_mov_b32_e32 v2, 0
	s_sub_i32 s3, s15, s2
	s_mul_i32 s2, s13, s5
	s_mul_i32 s4, s33, s4
	s_sub_i32 s5, s12, s2
	s_sub_i32 s6, s13, s4
	s_mov_b32 s36, exec_lo
	s_waitcnt lgkmcnt(0)
	s_mul_i32 s20, s20, s21
	s_and_b32 s16, s16, 0xffff
	v_cmpx_gt_i32_e64 s20, v10
	s_cbranch_execz .LBB32_23
; %bb.2:
	s_sub_i32 s2, 0, s38
	s_abs_i32 s26, s33
	s_mul_i32 s2, s2, s24
	s_ashr_i32 s25, s14, 31
	s_mul_hi_u32 s2, s24, s2
	s_clause 0x2
	s_load_b128 s[28:31], s[0:1], 0x9c
	s_load_b64 s[40:41], s[0:1], 0x0
	s_load_b128 s[12:15], s[0:1], 0x1c
	s_add_i32 s24, s24, s2
	s_ashr_i32 s4, s33, 31
	s_mul_hi_u32 s2, s26, s24
	s_lshr_b32 s37, s16, 5
	s_waitcnt lgkmcnt(0)
	s_mul_i32 s15, s2, s38
	s_xor_b32 s4, s4, s25
	s_sub_i32 s15, s26, s15
	s_add_i32 s39, s2, 1
	s_sub_i32 s42, s15, s38
	s_load_b128 s[24:27], s[0:1], 0x4c
	s_cmp_ge_u32 s15, s38
	v_mov_b32_e32 v13, 0
	s_cselect_b32 s2, s39, s2
	s_cselect_b32 s15, s42, s15
	s_waitcnt lgkmcnt(0)
	s_add_i32 s27, s2, 1
	s_cmp_ge_u32 s15, s38
	s_clause 0x1
	s_load_b64 s[38:39], s[0:1], 0x30
	s_load_b64 s[42:43], s[0:1], 0xac
	s_cselect_b32 s2, s27, s2
	s_mul_i32 s0, s13, s33
	s_xor_b32 s2, s2, s4
	s_ashr_i32 s1, s0, 31
	s_sub_i32 s2, s2, s4
	s_abs_i32 s45, s21
	s_mul_i32 s4, s6, s31
	s_lshl_b64 s[0:1], s[0:1], 3
	s_ashr_i32 s44, s21, 31
	s_sub_i32 s46, 0, s45
	s_sub_i32 s4, s4, s28
	s_add_u32 s13, s40, s0
	s_mul_i32 s0, s25, s2
	s_addc_u32 s15, s41, s1
	s_ashr_i32 s1, s0, 31
	v_cvt_f32_u32_e32 v1, s45
	s_lshl_b64 s[0:1], s[0:1], 3
	s_mov_b32 s28, 0
	s_waitcnt lgkmcnt(0)
	s_add_u32 s25, s38, s0
	s_addc_u32 s27, s39, s1
	s_abs_i32 s1, s23
	v_rcp_iflag_f32_e32 v1, v1
	v_cvt_f32_u32_e32 v2, s1
	s_sub_i32 s0, 0, s1
	s_delay_alu instid0(VALU_DEP_1) | instskip(SKIP_2) | instid1(VALU_DEP_1)
	v_rcp_iflag_f32_e32 v2, v2
	s_waitcnt_depctr 0xfff
	v_dual_mul_f32 v1, 0x4f7ffffe, v1 :: v_dual_mul_f32 v2, 0x4f7ffffe, v2
	v_cvt_u32_f32_e32 v1, v1
	s_delay_alu instid0(VALU_DEP_2) | instskip(NEXT) | instid1(VALU_DEP_2)
	v_cvt_u32_f32_e32 v2, v2
	v_mul_lo_u32 v3, s46, v1
	s_delay_alu instid0(VALU_DEP_2) | instskip(NEXT) | instid1(VALU_DEP_2)
	v_mul_lo_u32 v4, s0, v2
	v_mul_hi_u32 v3, v1, v3
	s_delay_alu instid0(VALU_DEP_2) | instskip(NEXT) | instid1(VALU_DEP_2)
	v_mul_hi_u32 v4, v2, v4
	v_add_nc_u32_e32 v1, v1, v3
	v_and_b32_e32 v3, 31, v0
	s_delay_alu instid0(VALU_DEP_2) | instskip(NEXT) | instid1(VALU_DEP_1)
	v_mul_hi_u32 v1, v10, v1
	v_add_nc_u32_e32 v6, 1, v1
	v_add_nc_u32_e32 v2, v2, v4
	v_mul_lo_u32 v4, v1, s45
	s_delay_alu instid0(VALU_DEP_1) | instskip(NEXT) | instid1(VALU_DEP_1)
	v_sub_nc_u32_e32 v4, v10, v4
	v_cmp_le_u32_e32 vcc_lo, s45, v4
	v_cndmask_b32_e32 v1, v1, v6, vcc_lo
	v_mul_hi_u32 v2, v3, v2
	v_subrev_nc_u32_e32 v6, s45, v4
	s_delay_alu instid0(VALU_DEP_1) | instskip(NEXT) | instid1(VALU_DEP_4)
	v_cndmask_b32_e32 v4, v4, v6, vcc_lo
	v_add_nc_u32_e32 v6, 1, v1
	s_delay_alu instid0(VALU_DEP_4) | instskip(SKIP_1) | instid1(VALU_DEP_4)
	v_mul_lo_u32 v5, v2, s1
	v_add_nc_u32_e32 v7, 1, v2
	v_cmp_le_u32_e32 vcc_lo, s45, v4
	s_delay_alu instid0(VALU_DEP_3) | instskip(SKIP_1) | instid1(VALU_DEP_2)
	v_sub_nc_u32_e32 v5, v3, v5
	v_cndmask_b32_e32 v1, v1, v6, vcc_lo
	v_subrev_nc_u32_e32 v8, s1, v5
	v_cmp_le_u32_e64 s0, s1, v5
	s_delay_alu instid0(VALU_DEP_1) | instskip(NEXT) | instid1(VALU_DEP_3)
	v_cndmask_b32_e64 v2, v2, v7, s0
	v_cndmask_b32_e64 v5, v5, v8, s0
	s_ashr_i32 s0, s23, 31
	s_delay_alu instid0(VALU_DEP_2) | instskip(NEXT) | instid1(VALU_DEP_2)
	v_add_nc_u32_e32 v7, 1, v2
	v_cmp_le_u32_e32 vcc_lo, s1, v5
	s_mul_i32 s1, s5, s42
	s_delay_alu instid0(SALU_CYCLE_1) | instskip(NEXT) | instid1(VALU_DEP_2)
	s_sub_i32 s29, s1, s29
	v_cndmask_b32_e32 v2, v2, v7, vcc_lo
	v_lshlrev_b32_e32 v16, 3, v3
	v_xor_b32_e32 v1, s44, v1
	s_delay_alu instid0(VALU_DEP_3) | instskip(NEXT) | instid1(VALU_DEP_2)
	v_xor_b32_e32 v2, s0, v2
	v_subrev_nc_u32_e32 v11, s44, v1
	s_delay_alu instid0(VALU_DEP_2) | instskip(SKIP_1) | instid1(VALU_DEP_3)
	v_subrev_nc_u32_e32 v12, s0, v2
	v_mov_b32_e32 v1, 0
	v_mul_lo_u32 v4, v11, s21
	v_mov_b32_e32 v2, 0
	s_mul_i32 s0, s3, s43
	v_mul_lo_u32 v5, v12, s23
	v_cmp_gt_i32_e32 vcc_lo, s22, v12
	s_sub_i32 s30, s0, s30
	s_delay_alu instid0(VALU_DEP_4) | instskip(NEXT) | instid1(VALU_DEP_3)
	v_sub_nc_u32_e32 v14, v10, v4
	v_sub_nc_u32_e32 v15, v3, v5
	s_branch .LBB32_6
.LBB32_3:                               ;   in Loop: Header=BB32_6 Depth=1
	s_or_b32 exec_lo, exec_lo, s39
.LBB32_4:                               ;   in Loop: Header=BB32_6 Depth=1
	s_delay_alu instid0(SALU_CYCLE_1)
	s_or_b32 exec_lo, exec_lo, s38
.LBB32_5:                               ;   in Loop: Header=BB32_6 Depth=1
	s_delay_alu instid0(SALU_CYCLE_1) | instskip(SKIP_2) | instid1(VALU_DEP_2)
	s_or_b32 exec_lo, exec_lo, s31
	v_add_nc_u32_e32 v10, s37, v10
	v_add_nc_u32_e32 v14, s37, v14
	v_cmp_le_i32_e64 s0, s20, v10
	s_delay_alu instid0(VALU_DEP_1) | instskip(NEXT) | instid1(SALU_CYCLE_1)
	s_or_b32 s28, s0, s28
	s_and_not1_b32 exec_lo, exec_lo, s28
	s_cbranch_execz .LBB32_22
.LBB32_6:                               ; =>This Loop Header: Depth=1
                                        ;     Child Loop BB32_8 Depth 2
                                        ;     Child Loop BB32_14 Depth 2
                                        ;       Child Loop BB32_20 Depth 3
	s_mov_b32 s1, exec_lo
	s_delay_alu instid0(VALU_DEP_2)
	v_cmpx_le_i32_e64 s21, v14
	s_cbranch_execz .LBB32_10
; %bb.7:                                ;   in Loop: Header=BB32_6 Depth=1
	s_mov_b32 s2, 0
.LBB32_8:                               ;   Parent Loop BB32_6 Depth=1
                                        ; =>  This Inner Loop Header: Depth=2
	v_subrev_nc_u32_e32 v14, s21, v14
	v_add_nc_u32_e32 v11, 1, v11
	s_delay_alu instid0(VALU_DEP_2) | instskip(NEXT) | instid1(VALU_DEP_1)
	v_cmp_gt_i32_e64 s0, s21, v14
	s_or_b32 s2, s0, s2
	s_delay_alu instid0(SALU_CYCLE_1)
	s_and_not1_b32 exec_lo, exec_lo, s2
	s_cbranch_execnz .LBB32_8
; %bb.9:                                ;   in Loop: Header=BB32_6 Depth=1
	s_or_b32 exec_lo, exec_lo, s2
.LBB32_10:                              ;   in Loop: Header=BB32_6 Depth=1
	s_delay_alu instid0(SALU_CYCLE_1) | instskip(SKIP_1) | instid1(VALU_DEP_1)
	s_or_b32 exec_lo, exec_lo, s1
	v_mad_u64_u32 v[3:4], null, v14, s11, s[4:5]
	v_cmp_lt_i32_e64 s0, -1, v3
	v_cmp_gt_i32_e64 s1, s17, v3
	s_delay_alu instid0(VALU_DEP_1) | instskip(NEXT) | instid1(SALU_CYCLE_1)
	s_and_b32 s0, s0, s1
	s_and_saveexec_b32 s31, s0
	s_cbranch_execz .LBB32_5
; %bb.11:                               ;   in Loop: Header=BB32_6 Depth=1
	s_and_saveexec_b32 s38, vcc_lo
	s_cbranch_execz .LBB32_4
; %bb.12:                               ;   in Loop: Header=BB32_6 Depth=1
	v_mul_lo_u32 v4, s12, v11
	v_mul_lo_u32 v6, s24, v11
	;; [unrolled: 1-line block ×4, first 2 shown]
	v_dual_mov_b32 v19, v15 :: v_dual_mov_b32 v20, v12
	s_mov_b32 s39, 0
	v_ashrrev_i32_e32 v5, 31, v4
	v_ashrrev_i32_e32 v7, 31, v6
	;; [unrolled: 1-line block ×4, first 2 shown]
	s_delay_alu instid0(VALU_DEP_4) | instskip(NEXT) | instid1(VALU_DEP_4)
	v_lshlrev_b64 v[3:4], 3, v[4:5]
	v_lshlrev_b64 v[5:6], 3, v[6:7]
	s_delay_alu instid0(VALU_DEP_4) | instskip(NEXT) | instid1(VALU_DEP_4)
	v_lshlrev_b64 v[17:18], 3, v[17:18]
	v_lshlrev_b64 v[7:8], 3, v[8:9]
	s_delay_alu instid0(VALU_DEP_4) | instskip(NEXT) | instid1(VALU_DEP_1)
	v_add_co_u32 v3, s0, s13, v3
	v_add_co_ci_u32_e64 v4, s0, s15, v4, s0
	v_add_co_u32 v5, s0, s25, v5
	s_delay_alu instid0(VALU_DEP_1) | instskip(NEXT) | instid1(VALU_DEP_4)
	v_add_co_ci_u32_e64 v6, s0, s27, v6, s0
	v_add_co_u32 v3, s0, v3, v17
	s_delay_alu instid0(VALU_DEP_1) | instskip(NEXT) | instid1(VALU_DEP_4)
	;; [unrolled: 3-line block ×3, first 2 shown]
	v_add_co_ci_u32_e64 v18, s0, v6, v8, s0
	v_add_co_u32 v3, s0, v3, v16
	s_delay_alu instid0(VALU_DEP_1)
	v_add_co_ci_u32_e64 v4, s0, 0, v4, s0
	s_branch .LBB32_14
.LBB32_13:                              ;   in Loop: Header=BB32_14 Depth=2
	s_or_b32 exec_lo, exec_lo, s1
	s_waitcnt vmcnt(0)
	v_fma_f64 v[1:2], v[5:6], v[7:8], v[1:2]
	v_cmp_le_i32_e64 s0, s22, v20
	v_add_co_u32 v3, s1, 0x100, v3
	s_delay_alu instid0(VALU_DEP_1) | instskip(NEXT) | instid1(VALU_DEP_3)
	v_add_co_ci_u32_e64 v4, s1, 0, v4, s1
	s_or_b32 s39, s0, s39
	s_delay_alu instid0(SALU_CYCLE_1)
	s_and_not1_b32 exec_lo, exec_lo, s39
	s_cbranch_execz .LBB32_3
.LBB32_14:                              ;   Parent Loop BB32_6 Depth=1
                                        ; =>  This Loop Header: Depth=2
                                        ;       Child Loop BB32_20 Depth 3
	global_load_b64 v[5:6], v[3:4], off
	v_mov_b32_e32 v7, 0
	v_dual_mov_b32 v8, 0 :: v_dual_add_nc_u32 v9, s30, v19
	s_mov_b32 s40, exec_lo
	s_delay_alu instid0(VALU_DEP_1)
	v_cmpx_lt_i32_e32 -1, v9
	s_cbranch_execz .LBB32_18
; %bb.15:                               ;   in Loop: Header=BB32_14 Depth=2
	v_add_nc_u32_e32 v21, s29, v20
	v_mov_b32_e32 v7, 0
	v_mov_b32_e32 v8, 0
	v_cmp_gt_i32_e64 s0, s19, v9
	s_delay_alu instid0(VALU_DEP_4) | instskip(SKIP_1) | instid1(VALU_DEP_2)
	v_cmp_gt_i32_e64 s1, s18, v21
	v_cmp_lt_i32_e64 s2, -1, v21
	s_and_b32 s0, s0, s1
	s_delay_alu instid0(VALU_DEP_1) | instid1(SALU_CYCLE_1)
	s_and_b32 s0, s0, s2
	s_delay_alu instid0(SALU_CYCLE_1)
	s_and_saveexec_b32 s1, s0
	s_cbranch_execz .LBB32_17
; %bb.16:                               ;   in Loop: Header=BB32_14 Depth=2
	v_mad_u64_u32 v[7:8], null, v21, s19, v[9:10]
	v_mov_b32_e32 v8, v13
	s_delay_alu instid0(VALU_DEP_1) | instskip(NEXT) | instid1(VALU_DEP_1)
	v_lshlrev_b64 v[7:8], 3, v[7:8]
	v_add_co_u32 v7, s0, v17, v7
	s_delay_alu instid0(VALU_DEP_1)
	v_add_co_ci_u32_e64 v8, s0, v18, v8, s0
	global_load_b64 v[7:8], v[7:8], off
.LBB32_17:                              ;   in Loop: Header=BB32_14 Depth=2
	s_or_b32 exec_lo, exec_lo, s1
.LBB32_18:                              ;   in Loop: Header=BB32_14 Depth=2
	s_delay_alu instid0(SALU_CYCLE_1) | instskip(SKIP_2) | instid1(VALU_DEP_1)
	s_or_b32 exec_lo, exec_lo, s40
	v_add_nc_u32_e32 v19, 32, v19
	s_mov_b32 s1, exec_lo
	v_cmpx_le_i32_e64 s23, v19
	s_cbranch_execz .LBB32_13
; %bb.19:                               ;   in Loop: Header=BB32_14 Depth=2
	s_mov_b32 s2, 0
.LBB32_20:                              ;   Parent Loop BB32_6 Depth=1
                                        ;     Parent Loop BB32_14 Depth=2
                                        ; =>    This Inner Loop Header: Depth=3
	v_subrev_nc_u32_e32 v19, s23, v19
	v_add_nc_u32_e32 v20, 1, v20
	s_delay_alu instid0(VALU_DEP_2) | instskip(NEXT) | instid1(VALU_DEP_1)
	v_cmp_gt_i32_e64 s0, s23, v19
	s_or_b32 s2, s0, s2
	s_delay_alu instid0(SALU_CYCLE_1)
	s_and_not1_b32 exec_lo, exec_lo, s2
	s_cbranch_execnz .LBB32_20
; %bb.21:                               ;   in Loop: Header=BB32_14 Depth=2
	s_or_b32 exec_lo, exec_lo, s2
	s_branch .LBB32_13
.LBB32_22:
	s_or_b32 exec_lo, exec_lo, s28
.LBB32_23:
	s_delay_alu instid0(SALU_CYCLE_1) | instskip(SKIP_2) | instid1(SALU_CYCLE_1)
	s_or_b32 exec_lo, exec_lo, s36
	v_lshl_add_u32 v3, v0, 3, 0
	s_bcnt1_i32_b32 s0, s16
	s_cmp_lg_u32 s0, 1
	s_mov_b32 s0, -1
	ds_store_b64 v3, v[1:2]
	s_waitcnt lgkmcnt(0)
	s_barrier
	buffer_gl0_inv
	s_cbranch_scc1 .LBB32_32
; %bb.24:
	s_and_not1_b32 vcc_lo, exec_lo, s0
	s_cbranch_vccnz .LBB32_28
.LBB32_25:
	s_cmp_lt_u32 s16, 2
	s_cbranch_scc0 .LBB32_30
.LBB32_26:
	s_mov_b32 s0, exec_lo
	v_cmpx_eq_u32_e32 0, v0
	s_cbranch_execz .LBB32_28
; %bb.27:
	s_mul_i32 s0, s7, s33
	v_mov_b32_e32 v2, 0
	s_ashr_i32 s1, s0, 31
	s_mul_i32 s6, s8, s6
	s_lshl_b64 s[0:1], s[0:1], 3
	s_mul_i32 s4, s9, s5
	ds_load_b64 v[0:1], v2
	s_add_u32 s2, s34, s0
	s_addc_u32 s8, s35, s1
	s_ashr_i32 s7, s6, 31
	s_delay_alu instid0(SALU_CYCLE_1) | instskip(NEXT) | instid1(SALU_CYCLE_1)
	s_lshl_b64 s[0:1], s[6:7], 3
	s_add_u32 s2, s2, s0
	s_addc_u32 s6, s8, s1
	s_ashr_i32 s5, s4, 31
	s_delay_alu instid0(SALU_CYCLE_1) | instskip(NEXT) | instid1(SALU_CYCLE_1)
	s_lshl_b64 s[0:1], s[4:5], 3
	s_add_u32 s2, s2, s0
	s_mul_i32 s0, s10, s3
	s_addc_u32 s3, s6, s1
	s_ashr_i32 s1, s0, 31
	s_delay_alu instid0(SALU_CYCLE_1) | instskip(NEXT) | instid1(SALU_CYCLE_1)
	s_lshl_b64 s[0:1], s[0:1], 3
	s_add_u32 s0, s2, s0
	s_addc_u32 s1, s3, s1
	s_waitcnt lgkmcnt(0)
	global_store_b64 v2, v[0:1], s[0:1]
.LBB32_28:
	s_nop 0
	s_sendmsg sendmsg(MSG_DEALLOC_VGPRS)
	s_endpgm
	.p2align	6
.LBB32_29:                              ;   in Loop: Header=BB32_30 Depth=1
	s_or_b32 exec_lo, exec_lo, s1
	s_cmp_lt_u32 s16, 4
	s_mov_b32 s16, s0
	s_waitcnt lgkmcnt(0)
	s_barrier
	buffer_gl0_inv
	s_cbranch_scc1 .LBB32_26
.LBB32_30:                              ; =>This Inner Loop Header: Depth=1
	s_lshr_b32 s0, s16, 1
	s_mov_b32 s1, exec_lo
	v_cmpx_gt_u32_e64 s0, v0
	s_cbranch_execz .LBB32_29
; %bb.31:                               ;   in Loop: Header=BB32_30 Depth=1
	v_lshl_add_u32 v1, s0, 3, v3
	ds_load_b64 v[1:2], v1
	ds_load_b64 v[4:5], v3
	s_waitcnt lgkmcnt(0)
	v_add_f64 v[1:2], v[1:2], v[4:5]
	ds_store_b64 v3, v[1:2]
	s_branch .LBB32_29
.LBB32_32:
	s_cbranch_execnz .LBB32_34
; %bb.33:
	; divergent unreachable
	s_cbranch_execz .LBB32_25
	s_branch .LBB32_28
.LBB32_34:
	s_trap 2
	s_sendmsg_rtn_b32 s0, sendmsg(MSG_RTN_GET_DOORBELL)
	s_mov_b32 ttmp2, m0
	s_waitcnt lgkmcnt(0)
	s_and_b32 s0, s0, 0x3ff
	s_delay_alu instid0(SALU_CYCLE_1) | instskip(NEXT) | instid1(SALU_CYCLE_1)
	s_bitset1_b32 s0, 10
	s_mov_b32 m0, s0
	s_sendmsg sendmsg(MSG_INTERRUPT)
	s_mov_b32 m0, ttmp2
.LBB32_35:                              ; =>This Inner Loop Header: Depth=1
	s_sethalt 5
	s_branch .LBB32_35
	.section	.rodata,"a",@progbits
	.p2align	6, 0x0
	.amdhsa_kernel _ZN2at6native12_GLOBAL__N_144conv_depthwise3d_cuda_backward_weight_kernelIddLi1ELi1EEEvN5torch10headeronly6detail27GenericPackedTensorAccessorINS5_14TensorAccessorIN3c108ArrayRefIlEEKT_Lm4ENS4_16DefaultPtrTraitsEiEENS_6detail16IndexBoundsCheckILm5EiEESC_Lm5ESD_iEESI_NS6_INS7_ISA_SB_Lm4ESD_iEESH_SB_Lm5ESD_iEEiiiiiiiii
		.amdhsa_group_segment_fixed_size 0
		.amdhsa_private_segment_fixed_size 0
		.amdhsa_kernarg_size 440
		.amdhsa_user_sgpr_count 15
		.amdhsa_user_sgpr_dispatch_ptr 0
		.amdhsa_user_sgpr_queue_ptr 0
		.amdhsa_user_sgpr_kernarg_segment_ptr 1
		.amdhsa_user_sgpr_dispatch_id 0
		.amdhsa_user_sgpr_private_segment_size 0
		.amdhsa_wavefront_size32 1
		.amdhsa_uses_dynamic_stack 0
		.amdhsa_enable_private_segment 0
		.amdhsa_system_sgpr_workgroup_id_x 1
		.amdhsa_system_sgpr_workgroup_id_y 0
		.amdhsa_system_sgpr_workgroup_id_z 0
		.amdhsa_system_sgpr_workgroup_info 0
		.amdhsa_system_vgpr_workitem_id 0
		.amdhsa_next_free_vgpr 22
		.amdhsa_next_free_sgpr 47
		.amdhsa_reserve_vcc 1
		.amdhsa_float_round_mode_32 0
		.amdhsa_float_round_mode_16_64 0
		.amdhsa_float_denorm_mode_32 3
		.amdhsa_float_denorm_mode_16_64 3
		.amdhsa_dx10_clamp 1
		.amdhsa_ieee_mode 1
		.amdhsa_fp16_overflow 0
		.amdhsa_workgroup_processor_mode 1
		.amdhsa_memory_ordered 1
		.amdhsa_forward_progress 0
		.amdhsa_shared_vgpr_count 0
		.amdhsa_exception_fp_ieee_invalid_op 0
		.amdhsa_exception_fp_denorm_src 0
		.amdhsa_exception_fp_ieee_div_zero 0
		.amdhsa_exception_fp_ieee_overflow 0
		.amdhsa_exception_fp_ieee_underflow 0
		.amdhsa_exception_fp_ieee_inexact 0
		.amdhsa_exception_int_div_zero 0
	.end_amdhsa_kernel
	.section	.text._ZN2at6native12_GLOBAL__N_144conv_depthwise3d_cuda_backward_weight_kernelIddLi1ELi1EEEvN5torch10headeronly6detail27GenericPackedTensorAccessorINS5_14TensorAccessorIN3c108ArrayRefIlEEKT_Lm4ENS4_16DefaultPtrTraitsEiEENS_6detail16IndexBoundsCheckILm5EiEESC_Lm5ESD_iEESI_NS6_INS7_ISA_SB_Lm4ESD_iEESH_SB_Lm5ESD_iEEiiiiiiiii,"axG",@progbits,_ZN2at6native12_GLOBAL__N_144conv_depthwise3d_cuda_backward_weight_kernelIddLi1ELi1EEEvN5torch10headeronly6detail27GenericPackedTensorAccessorINS5_14TensorAccessorIN3c108ArrayRefIlEEKT_Lm4ENS4_16DefaultPtrTraitsEiEENS_6detail16IndexBoundsCheckILm5EiEESC_Lm5ESD_iEESI_NS6_INS7_ISA_SB_Lm4ESD_iEESH_SB_Lm5ESD_iEEiiiiiiiii,comdat
.Lfunc_end32:
	.size	_ZN2at6native12_GLOBAL__N_144conv_depthwise3d_cuda_backward_weight_kernelIddLi1ELi1EEEvN5torch10headeronly6detail27GenericPackedTensorAccessorINS5_14TensorAccessorIN3c108ArrayRefIlEEKT_Lm4ENS4_16DefaultPtrTraitsEiEENS_6detail16IndexBoundsCheckILm5EiEESC_Lm5ESD_iEESI_NS6_INS7_ISA_SB_Lm4ESD_iEESH_SB_Lm5ESD_iEEiiiiiiiii, .Lfunc_end32-_ZN2at6native12_GLOBAL__N_144conv_depthwise3d_cuda_backward_weight_kernelIddLi1ELi1EEEvN5torch10headeronly6detail27GenericPackedTensorAccessorINS5_14TensorAccessorIN3c108ArrayRefIlEEKT_Lm4ENS4_16DefaultPtrTraitsEiEENS_6detail16IndexBoundsCheckILm5EiEESC_Lm5ESD_iEESI_NS6_INS7_ISA_SB_Lm4ESD_iEESH_SB_Lm5ESD_iEEiiiiiiiii
                                        ; -- End function
	.section	.AMDGPU.csdata,"",@progbits
; Kernel info:
; codeLenInByte = 2272
; NumSgprs: 49
; NumVgprs: 22
; ScratchSize: 0
; MemoryBound: 0
; FloatMode: 240
; IeeeMode: 1
; LDSByteSize: 0 bytes/workgroup (compile time only)
; SGPRBlocks: 6
; VGPRBlocks: 2
; NumSGPRsForWavesPerEU: 49
; NumVGPRsForWavesPerEU: 22
; Occupancy: 16
; WaveLimiterHint : 1
; COMPUTE_PGM_RSRC2:SCRATCH_EN: 0
; COMPUTE_PGM_RSRC2:USER_SGPR: 15
; COMPUTE_PGM_RSRC2:TRAP_HANDLER: 0
; COMPUTE_PGM_RSRC2:TGID_X_EN: 1
; COMPUTE_PGM_RSRC2:TGID_Y_EN: 0
; COMPUTE_PGM_RSRC2:TGID_Z_EN: 0
; COMPUTE_PGM_RSRC2:TIDIG_COMP_CNT: 0
	.section	.text._ZN2at6native12_GLOBAL__N_144conv_depthwise3d_cuda_backward_weight_kernelIddLi2ELi2EEEvN5torch10headeronly6detail27GenericPackedTensorAccessorINS5_14TensorAccessorIN3c108ArrayRefIlEEKT_Lm4ENS4_16DefaultPtrTraitsEiEENS_6detail16IndexBoundsCheckILm5EiEESC_Lm5ESD_iEESI_NS6_INS7_ISA_SB_Lm4ESD_iEESH_SB_Lm5ESD_iEEiiiiiiiii,"axG",@progbits,_ZN2at6native12_GLOBAL__N_144conv_depthwise3d_cuda_backward_weight_kernelIddLi2ELi2EEEvN5torch10headeronly6detail27GenericPackedTensorAccessorINS5_14TensorAccessorIN3c108ArrayRefIlEEKT_Lm4ENS4_16DefaultPtrTraitsEiEENS_6detail16IndexBoundsCheckILm5EiEESC_Lm5ESD_iEESI_NS6_INS7_ISA_SB_Lm4ESD_iEESH_SB_Lm5ESD_iEEiiiiiiiii,comdat
	.globl	_ZN2at6native12_GLOBAL__N_144conv_depthwise3d_cuda_backward_weight_kernelIddLi2ELi2EEEvN5torch10headeronly6detail27GenericPackedTensorAccessorINS5_14TensorAccessorIN3c108ArrayRefIlEEKT_Lm4ENS4_16DefaultPtrTraitsEiEENS_6detail16IndexBoundsCheckILm5EiEESC_Lm5ESD_iEESI_NS6_INS7_ISA_SB_Lm4ESD_iEESH_SB_Lm5ESD_iEEiiiiiiiii ; -- Begin function _ZN2at6native12_GLOBAL__N_144conv_depthwise3d_cuda_backward_weight_kernelIddLi2ELi2EEEvN5torch10headeronly6detail27GenericPackedTensorAccessorINS5_14TensorAccessorIN3c108ArrayRefIlEEKT_Lm4ENS4_16DefaultPtrTraitsEiEENS_6detail16IndexBoundsCheckILm5EiEESC_Lm5ESD_iEESI_NS6_INS7_ISA_SB_Lm4ESD_iEESH_SB_Lm5ESD_iEEiiiiiiiii
	.p2align	8
	.type	_ZN2at6native12_GLOBAL__N_144conv_depthwise3d_cuda_backward_weight_kernelIddLi2ELi2EEEvN5torch10headeronly6detail27GenericPackedTensorAccessorINS5_14TensorAccessorIN3c108ArrayRefIlEEKT_Lm4ENS4_16DefaultPtrTraitsEiEENS_6detail16IndexBoundsCheckILm5EiEESC_Lm5ESD_iEESI_NS6_INS7_ISA_SB_Lm4ESD_iEESH_SB_Lm5ESD_iEEiiiiiiiii,@function
_ZN2at6native12_GLOBAL__N_144conv_depthwise3d_cuda_backward_weight_kernelIddLi2ELi2EEEvN5torch10headeronly6detail27GenericPackedTensorAccessorINS5_14TensorAccessorIN3c108ArrayRefIlEEKT_Lm4ENS4_16DefaultPtrTraitsEiEENS_6detail16IndexBoundsCheckILm5EiEESC_Lm5ESD_iEESI_NS6_INS7_ISA_SB_Lm4ESD_iEESH_SB_Lm5ESD_iEEiiiiiiiii: ; @_ZN2at6native12_GLOBAL__N_144conv_depthwise3d_cuda_backward_weight_kernelIddLi2ELi2EEEvN5torch10headeronly6detail27GenericPackedTensorAccessorINS5_14TensorAccessorIN3c108ArrayRefIlEEKT_Lm4ENS4_16DefaultPtrTraitsEiEENS_6detail16IndexBoundsCheckILm5EiEESC_Lm5ESD_iEESI_NS6_INS7_ISA_SB_Lm4ESD_iEESH_SB_Lm5ESD_iEEiiiiiiiii
; %bb.0:
	s_load_b128 s[4:7], s[0:1], 0x70
	s_add_u32 s2, s0, 0x60
	s_addc_u32 s3, s1, 0
	s_clause 0x1
	s_load_b128 s[16:19], s[0:1], 0x3c
	s_load_b128 s[20:23], s[0:1], 0xc
	s_waitcnt lgkmcnt(0)
	v_cvt_f32_u32_e32 v1, s6
	v_cvt_f32_u32_e32 v2, s5
	s_sub_i32 s9, 0, s6
	s_delay_alu instid0(VALU_DEP_2) | instskip(NEXT) | instid1(VALU_DEP_1)
	v_rcp_iflag_f32_e32 v1, v1
	v_rcp_iflag_f32_e32 v2, v2
	s_waitcnt_depctr 0xfff
	v_dual_mul_f32 v1, 0x4f7ffffe, v1 :: v_dual_mul_f32 v2, 0x4f7ffffe, v2
	s_delay_alu instid0(VALU_DEP_1) | instskip(NEXT) | instid1(VALU_DEP_2)
	v_cvt_u32_f32_e32 v1, v1
	v_cvt_u32_f32_e32 v2, v2
	s_delay_alu instid0(VALU_DEP_2) | instskip(SKIP_1) | instid1(VALU_DEP_3)
	v_readfirstlane_b32 s8, v1
	v_cvt_f32_u32_e32 v1, s4
	v_readfirstlane_b32 s13, v2
	s_delay_alu instid0(VALU_DEP_3) | instskip(NEXT) | instid1(VALU_DEP_2)
	s_mul_i32 s9, s9, s8
	v_rcp_iflag_f32_e32 v1, v1
	s_mul_hi_u32 s9, s8, s9
	s_delay_alu instid0(SALU_CYCLE_1) | instskip(NEXT) | instid1(SALU_CYCLE_1)
	s_add_i32 s8, s8, s9
	s_mul_hi_u32 s8, s15, s8
	s_delay_alu instid0(SALU_CYCLE_1)
	s_mul_i32 s9, s8, s6
	s_add_i32 s10, s8, 1
	s_sub_i32 s9, s15, s9
	s_waitcnt_depctr 0xfff
	v_mul_f32_e32 v1, 0x4f7ffffe, v1
	s_sub_i32 s11, s9, s6
	s_cmp_ge_u32 s9, s6
	s_cselect_b32 s8, s10, s8
	s_cselect_b32 s9, s11, s9
	s_add_i32 s10, s8, 1
	s_cmp_ge_u32 s9, s6
	v_cvt_u32_f32_e32 v1, v1
	s_cselect_b32 s12, s10, s8
	s_sub_i32 s8, 0, s5
	s_delay_alu instid0(SALU_CYCLE_1) | instskip(NEXT) | instid1(VALU_DEP_1)
	s_mul_i32 s8, s8, s13
	v_readfirstlane_b32 s14, v1
	s_mul_hi_u32 s8, s13, s8
	s_delay_alu instid0(SALU_CYCLE_1) | instskip(NEXT) | instid1(SALU_CYCLE_1)
	s_add_i32 s13, s13, s8
	s_mul_hi_u32 s8, s12, s13
	s_delay_alu instid0(SALU_CYCLE_1) | instskip(SKIP_2) | instid1(SALU_CYCLE_1)
	s_mul_i32 s9, s8, s5
	s_add_i32 s10, s8, 1
	s_sub_i32 s9, s12, s9
	s_sub_i32 s11, s9, s5
	s_cmp_ge_u32 s9, s5
	s_cselect_b32 s8, s10, s8
	s_cselect_b32 s9, s11, s9
	s_add_i32 s10, s8, 1
	s_cmp_ge_u32 s9, s5
	s_cselect_b32 s13, s10, s8
	s_sub_i32 s8, 0, s4
	s_delay_alu instid0(SALU_CYCLE_1) | instskip(NEXT) | instid1(SALU_CYCLE_1)
	s_mul_i32 s8, s8, s14
	s_mul_hi_u32 s8, s14, s8
	s_delay_alu instid0(SALU_CYCLE_1) | instskip(NEXT) | instid1(SALU_CYCLE_1)
	s_add_i32 s14, s14, s8
	s_mul_hi_u32 s8, s13, s14
	s_delay_alu instid0(SALU_CYCLE_1) | instskip(SKIP_2) | instid1(SALU_CYCLE_1)
	s_mul_i32 s9, s8, s4
	s_add_i32 s10, s8, 1
	s_sub_i32 s9, s13, s9
	s_sub_i32 s11, s9, s4
	s_cmp_ge_u32 s9, s4
	s_cselect_b32 s8, s10, s8
	s_cselect_b32 s9, s11, s9
	s_add_i32 s10, s8, 1
	s_cmp_ge_u32 s9, s4
	s_cselect_b32 s33, s10, s8
	s_abs_i32 s8, s16
	s_abs_i32 s11, s20
	v_cvt_f32_u32_e32 v1, s8
	s_sub_i32 s10, 0, s8
	s_delay_alu instid0(VALU_DEP_1) | instskip(SKIP_2) | instid1(VALU_DEP_1)
	v_rcp_iflag_f32_e32 v1, v1
	s_waitcnt_depctr 0xfff
	v_mul_f32_e32 v1, 0x4f7ffffe, v1
	v_cvt_u32_f32_e32 v1, v1
	s_delay_alu instid0(VALU_DEP_1) | instskip(NEXT) | instid1(VALU_DEP_1)
	v_readfirstlane_b32 s9, v1
	s_mul_i32 s10, s10, s9
	s_delay_alu instid0(SALU_CYCLE_1) | instskip(NEXT) | instid1(SALU_CYCLE_1)
	s_mul_hi_u32 s10, s9, s10
	s_add_i32 s9, s9, s10
	s_xor_b32 s10, s20, s16
	s_mul_hi_u32 s9, s11, s9
	s_ashr_i32 s10, s10, 31
	s_mul_i32 s14, s9, s8
	s_delay_alu instid0(SALU_CYCLE_1)
	s_sub_i32 s11, s11, s14
	s_add_i32 s14, s9, 1
	s_sub_i32 s16, s11, s8
	s_cmp_ge_u32 s11, s8
	s_cselect_b32 s9, s14, s9
	s_cselect_b32 s11, s16, s11
	s_add_i32 s14, s9, 1
	s_cmp_ge_u32 s11, s8
	s_cselect_b32 s8, s14, s9
	s_delay_alu instid0(SALU_CYCLE_1) | instskip(NEXT) | instid1(SALU_CYCLE_1)
	s_xor_b32 s8, s8, s10
	s_sub_i32 s14, s8, s10
	s_load_b32 s8, s[0:1], 0x68
	s_abs_i32 s38, s14
	s_delay_alu instid0(SALU_CYCLE_1) | instskip(NEXT) | instid1(VALU_DEP_1)
	v_cvt_f32_u32_e32 v1, s38
	v_rcp_iflag_f32_e32 v1, v1
	s_waitcnt_depctr 0xfff
	v_mul_f32_e32 v1, 0x4f7ffffe, v1
	s_waitcnt lgkmcnt(0)
	s_cmp_ge_i32 s33, s8
	s_delay_alu instid0(VALU_DEP_1) | instskip(NEXT) | instid1(VALU_DEP_1)
	v_cvt_u32_f32_e32 v1, v1
	v_readfirstlane_b32 s24, v1
	s_cbranch_scc1 .LBB33_28
; %bb.1:
	s_clause 0x1
	s_load_b32 s20, s[0:1], 0x38
	s_load_b32 s16, s[0:1], 0xc4
	s_clause 0x1
	s_load_b64 s[34:35], s[2:3], 0x0
	s_load_b128 s[8:11], s[2:3], 0x24
	s_mul_i32 s2, s12, s6
	v_mov_b32_e32 v1, 0
	v_lshrrev_b32_e32 v10, 5, v0
	v_mov_b32_e32 v2, 0
	s_sub_i32 s3, s15, s2
	s_mul_i32 s2, s13, s5
	s_mul_i32 s4, s33, s4
	s_sub_i32 s5, s12, s2
	s_sub_i32 s6, s13, s4
	s_mov_b32 s36, exec_lo
	s_waitcnt lgkmcnt(0)
	s_mul_i32 s20, s20, s21
	s_and_b32 s16, s16, 0xffff
	v_cmpx_gt_i32_e64 s20, v10
	s_cbranch_execz .LBB33_23
; %bb.2:
	s_sub_i32 s2, 0, s38
	s_abs_i32 s26, s33
	s_mul_i32 s2, s2, s24
	s_ashr_i32 s25, s14, 31
	s_mul_hi_u32 s2, s24, s2
	s_clause 0x2
	s_load_b128 s[28:31], s[0:1], 0x9c
	s_load_b64 s[40:41], s[0:1], 0x0
	s_load_b128 s[12:15], s[0:1], 0x1c
	s_add_i32 s24, s24, s2
	s_ashr_i32 s4, s33, 31
	s_mul_hi_u32 s2, s26, s24
	s_lshr_b32 s37, s16, 5
	s_waitcnt lgkmcnt(0)
	s_mul_i32 s15, s2, s38
	s_xor_b32 s4, s4, s25
	s_sub_i32 s15, s26, s15
	s_add_i32 s39, s2, 1
	s_sub_i32 s42, s15, s38
	s_load_b128 s[24:27], s[0:1], 0x4c
	s_cmp_ge_u32 s15, s38
	v_mov_b32_e32 v13, 0
	s_cselect_b32 s2, s39, s2
	s_cselect_b32 s15, s42, s15
	s_waitcnt lgkmcnt(0)
	s_add_i32 s27, s2, 1
	s_cmp_ge_u32 s15, s38
	s_clause 0x1
	s_load_b64 s[38:39], s[0:1], 0x30
	s_load_b64 s[42:43], s[0:1], 0xac
	s_cselect_b32 s2, s27, s2
	s_mul_i32 s0, s13, s33
	s_xor_b32 s2, s2, s4
	s_ashr_i32 s1, s0, 31
	s_sub_i32 s2, s2, s4
	s_abs_i32 s45, s21
	s_mul_i32 s4, s6, s31
	s_lshl_b64 s[0:1], s[0:1], 3
	s_ashr_i32 s44, s21, 31
	s_sub_i32 s46, 0, s45
	s_sub_i32 s4, s4, s28
	s_add_u32 s13, s40, s0
	s_mul_i32 s0, s25, s2
	s_addc_u32 s15, s41, s1
	s_ashr_i32 s1, s0, 31
	v_cvt_f32_u32_e32 v1, s45
	s_lshl_b64 s[0:1], s[0:1], 3
	s_mov_b32 s28, 0
	s_waitcnt lgkmcnt(0)
	s_add_u32 s25, s38, s0
	s_addc_u32 s27, s39, s1
	s_abs_i32 s1, s23
	v_rcp_iflag_f32_e32 v1, v1
	v_cvt_f32_u32_e32 v2, s1
	s_sub_i32 s0, 0, s1
	s_delay_alu instid0(VALU_DEP_1) | instskip(SKIP_2) | instid1(VALU_DEP_1)
	v_rcp_iflag_f32_e32 v2, v2
	s_waitcnt_depctr 0xfff
	v_dual_mul_f32 v1, 0x4f7ffffe, v1 :: v_dual_mul_f32 v2, 0x4f7ffffe, v2
	v_cvt_u32_f32_e32 v1, v1
	s_delay_alu instid0(VALU_DEP_2) | instskip(NEXT) | instid1(VALU_DEP_2)
	v_cvt_u32_f32_e32 v2, v2
	v_mul_lo_u32 v3, s46, v1
	s_delay_alu instid0(VALU_DEP_2) | instskip(NEXT) | instid1(VALU_DEP_2)
	v_mul_lo_u32 v4, s0, v2
	v_mul_hi_u32 v3, v1, v3
	s_delay_alu instid0(VALU_DEP_2) | instskip(NEXT) | instid1(VALU_DEP_2)
	v_mul_hi_u32 v4, v2, v4
	v_add_nc_u32_e32 v1, v1, v3
	v_and_b32_e32 v3, 31, v0
	s_delay_alu instid0(VALU_DEP_2) | instskip(NEXT) | instid1(VALU_DEP_1)
	v_mul_hi_u32 v1, v10, v1
	v_add_nc_u32_e32 v6, 1, v1
	v_add_nc_u32_e32 v2, v2, v4
	v_mul_lo_u32 v4, v1, s45
	s_delay_alu instid0(VALU_DEP_1) | instskip(NEXT) | instid1(VALU_DEP_1)
	v_sub_nc_u32_e32 v4, v10, v4
	v_cmp_le_u32_e32 vcc_lo, s45, v4
	v_cndmask_b32_e32 v1, v1, v6, vcc_lo
	v_mul_hi_u32 v2, v3, v2
	v_subrev_nc_u32_e32 v6, s45, v4
	s_delay_alu instid0(VALU_DEP_1) | instskip(NEXT) | instid1(VALU_DEP_4)
	v_cndmask_b32_e32 v4, v4, v6, vcc_lo
	v_add_nc_u32_e32 v6, 1, v1
	s_delay_alu instid0(VALU_DEP_4) | instskip(SKIP_1) | instid1(VALU_DEP_4)
	v_mul_lo_u32 v5, v2, s1
	v_add_nc_u32_e32 v7, 1, v2
	v_cmp_le_u32_e32 vcc_lo, s45, v4
	s_delay_alu instid0(VALU_DEP_3) | instskip(SKIP_1) | instid1(VALU_DEP_2)
	v_sub_nc_u32_e32 v5, v3, v5
	v_cndmask_b32_e32 v1, v1, v6, vcc_lo
	v_subrev_nc_u32_e32 v8, s1, v5
	v_cmp_le_u32_e64 s0, s1, v5
	s_delay_alu instid0(VALU_DEP_1) | instskip(NEXT) | instid1(VALU_DEP_3)
	v_cndmask_b32_e64 v2, v2, v7, s0
	v_cndmask_b32_e64 v5, v5, v8, s0
	s_ashr_i32 s0, s23, 31
	s_delay_alu instid0(VALU_DEP_2) | instskip(NEXT) | instid1(VALU_DEP_2)
	v_add_nc_u32_e32 v7, 1, v2
	v_cmp_le_u32_e32 vcc_lo, s1, v5
	s_mul_i32 s1, s5, s42
	s_delay_alu instid0(SALU_CYCLE_1) | instskip(NEXT) | instid1(VALU_DEP_2)
	s_sub_i32 s29, s1, s29
	v_cndmask_b32_e32 v2, v2, v7, vcc_lo
	v_lshlrev_b32_e32 v16, 3, v3
	v_xor_b32_e32 v1, s44, v1
	s_delay_alu instid0(VALU_DEP_3) | instskip(NEXT) | instid1(VALU_DEP_2)
	v_xor_b32_e32 v2, s0, v2
	v_subrev_nc_u32_e32 v11, s44, v1
	s_delay_alu instid0(VALU_DEP_2) | instskip(SKIP_1) | instid1(VALU_DEP_3)
	v_subrev_nc_u32_e32 v12, s0, v2
	v_mov_b32_e32 v1, 0
	v_mul_lo_u32 v4, v11, s21
	v_mov_b32_e32 v2, 0
	s_mul_i32 s0, s3, s43
	v_mul_lo_u32 v5, v12, s23
	v_cmp_gt_i32_e32 vcc_lo, s22, v12
	s_sub_i32 s30, s0, s30
	s_delay_alu instid0(VALU_DEP_4) | instskip(NEXT) | instid1(VALU_DEP_3)
	v_sub_nc_u32_e32 v14, v10, v4
	v_sub_nc_u32_e32 v15, v3, v5
	s_branch .LBB33_6
.LBB33_3:                               ;   in Loop: Header=BB33_6 Depth=1
	s_or_b32 exec_lo, exec_lo, s39
.LBB33_4:                               ;   in Loop: Header=BB33_6 Depth=1
	s_delay_alu instid0(SALU_CYCLE_1)
	s_or_b32 exec_lo, exec_lo, s38
.LBB33_5:                               ;   in Loop: Header=BB33_6 Depth=1
	s_delay_alu instid0(SALU_CYCLE_1) | instskip(SKIP_2) | instid1(VALU_DEP_2)
	s_or_b32 exec_lo, exec_lo, s31
	v_add_nc_u32_e32 v10, s37, v10
	v_add_nc_u32_e32 v14, s37, v14
	v_cmp_le_i32_e64 s0, s20, v10
	s_delay_alu instid0(VALU_DEP_1) | instskip(NEXT) | instid1(SALU_CYCLE_1)
	s_or_b32 s28, s0, s28
	s_and_not1_b32 exec_lo, exec_lo, s28
	s_cbranch_execz .LBB33_22
.LBB33_6:                               ; =>This Loop Header: Depth=1
                                        ;     Child Loop BB33_8 Depth 2
                                        ;     Child Loop BB33_14 Depth 2
                                        ;       Child Loop BB33_20 Depth 3
	s_mov_b32 s1, exec_lo
	s_delay_alu instid0(VALU_DEP_2)
	v_cmpx_le_i32_e64 s21, v14
	s_cbranch_execz .LBB33_10
; %bb.7:                                ;   in Loop: Header=BB33_6 Depth=1
	s_mov_b32 s2, 0
.LBB33_8:                               ;   Parent Loop BB33_6 Depth=1
                                        ; =>  This Inner Loop Header: Depth=2
	v_subrev_nc_u32_e32 v14, s21, v14
	v_add_nc_u32_e32 v11, 1, v11
	s_delay_alu instid0(VALU_DEP_2) | instskip(NEXT) | instid1(VALU_DEP_1)
	v_cmp_gt_i32_e64 s0, s21, v14
	s_or_b32 s2, s0, s2
	s_delay_alu instid0(SALU_CYCLE_1)
	s_and_not1_b32 exec_lo, exec_lo, s2
	s_cbranch_execnz .LBB33_8
; %bb.9:                                ;   in Loop: Header=BB33_6 Depth=1
	s_or_b32 exec_lo, exec_lo, s2
.LBB33_10:                              ;   in Loop: Header=BB33_6 Depth=1
	s_delay_alu instid0(SALU_CYCLE_1) | instskip(SKIP_1) | instid1(VALU_DEP_1)
	s_or_b32 exec_lo, exec_lo, s1
	v_mad_u64_u32 v[3:4], null, v14, s11, s[4:5]
	v_cmp_lt_i32_e64 s0, -1, v3
	v_cmp_gt_i32_e64 s1, s17, v3
	s_delay_alu instid0(VALU_DEP_1) | instskip(NEXT) | instid1(SALU_CYCLE_1)
	s_and_b32 s0, s0, s1
	s_and_saveexec_b32 s31, s0
	s_cbranch_execz .LBB33_5
; %bb.11:                               ;   in Loop: Header=BB33_6 Depth=1
	s_and_saveexec_b32 s38, vcc_lo
	s_cbranch_execz .LBB33_4
; %bb.12:                               ;   in Loop: Header=BB33_6 Depth=1
	v_mul_lo_u32 v4, s12, v11
	v_mul_lo_u32 v6, s24, v11
	;; [unrolled: 1-line block ×4, first 2 shown]
	v_dual_mov_b32 v19, v15 :: v_dual_mov_b32 v20, v12
	s_mov_b32 s39, 0
	v_ashrrev_i32_e32 v5, 31, v4
	v_ashrrev_i32_e32 v7, 31, v6
	;; [unrolled: 1-line block ×4, first 2 shown]
	s_delay_alu instid0(VALU_DEP_4) | instskip(NEXT) | instid1(VALU_DEP_4)
	v_lshlrev_b64 v[3:4], 3, v[4:5]
	v_lshlrev_b64 v[5:6], 3, v[6:7]
	s_delay_alu instid0(VALU_DEP_4) | instskip(NEXT) | instid1(VALU_DEP_4)
	v_lshlrev_b64 v[17:18], 3, v[17:18]
	v_lshlrev_b64 v[7:8], 3, v[8:9]
	s_delay_alu instid0(VALU_DEP_4) | instskip(NEXT) | instid1(VALU_DEP_1)
	v_add_co_u32 v3, s0, s13, v3
	v_add_co_ci_u32_e64 v4, s0, s15, v4, s0
	v_add_co_u32 v5, s0, s25, v5
	s_delay_alu instid0(VALU_DEP_1) | instskip(NEXT) | instid1(VALU_DEP_4)
	v_add_co_ci_u32_e64 v6, s0, s27, v6, s0
	v_add_co_u32 v3, s0, v3, v17
	s_delay_alu instid0(VALU_DEP_1) | instskip(NEXT) | instid1(VALU_DEP_4)
	v_add_co_ci_u32_e64 v4, s0, v4, v18, s0
	v_add_co_u32 v17, s0, v5, v7
	s_delay_alu instid0(VALU_DEP_1) | instskip(NEXT) | instid1(VALU_DEP_4)
	v_add_co_ci_u32_e64 v18, s0, v6, v8, s0
	v_add_co_u32 v3, s0, v3, v16
	s_delay_alu instid0(VALU_DEP_1)
	v_add_co_ci_u32_e64 v4, s0, 0, v4, s0
	s_branch .LBB33_14
.LBB33_13:                              ;   in Loop: Header=BB33_14 Depth=2
	s_or_b32 exec_lo, exec_lo, s1
	s_waitcnt vmcnt(0)
	v_fma_f64 v[1:2], v[5:6], v[7:8], v[1:2]
	v_cmp_le_i32_e64 s0, s22, v20
	v_add_co_u32 v3, s1, 0x100, v3
	s_delay_alu instid0(VALU_DEP_1) | instskip(NEXT) | instid1(VALU_DEP_3)
	v_add_co_ci_u32_e64 v4, s1, 0, v4, s1
	s_or_b32 s39, s0, s39
	s_delay_alu instid0(SALU_CYCLE_1)
	s_and_not1_b32 exec_lo, exec_lo, s39
	s_cbranch_execz .LBB33_3
.LBB33_14:                              ;   Parent Loop BB33_6 Depth=1
                                        ; =>  This Loop Header: Depth=2
                                        ;       Child Loop BB33_20 Depth 3
	global_load_b64 v[5:6], v[3:4], off
	v_mov_b32_e32 v7, 0
	v_lshl_add_u32 v9, v19, 1, s30
	v_mov_b32_e32 v8, 0
	s_mov_b32 s40, exec_lo
	s_delay_alu instid0(VALU_DEP_2)
	v_cmpx_lt_i32_e32 -1, v9
	s_cbranch_execz .LBB33_18
; %bb.15:                               ;   in Loop: Header=BB33_14 Depth=2
	v_lshl_add_u32 v21, v20, 1, s29
	v_cmp_gt_i32_e64 s0, s19, v9
	v_mov_b32_e32 v7, 0
	v_mov_b32_e32 v8, 0
	s_delay_alu instid0(VALU_DEP_4) | instskip(SKIP_1) | instid1(VALU_DEP_2)
	v_cmp_gt_i32_e64 s1, s18, v21
	v_cmp_lt_i32_e64 s2, -1, v21
	s_and_b32 s0, s0, s1
	s_delay_alu instid0(VALU_DEP_1) | instid1(SALU_CYCLE_1)
	s_and_b32 s0, s0, s2
	s_delay_alu instid0(SALU_CYCLE_1)
	s_and_saveexec_b32 s1, s0
	s_cbranch_execz .LBB33_17
; %bb.16:                               ;   in Loop: Header=BB33_14 Depth=2
	v_mad_u64_u32 v[7:8], null, v21, s19, v[9:10]
	v_mov_b32_e32 v8, v13
	s_delay_alu instid0(VALU_DEP_1) | instskip(NEXT) | instid1(VALU_DEP_1)
	v_lshlrev_b64 v[7:8], 3, v[7:8]
	v_add_co_u32 v7, s0, v17, v7
	s_delay_alu instid0(VALU_DEP_1)
	v_add_co_ci_u32_e64 v8, s0, v18, v8, s0
	global_load_b64 v[7:8], v[7:8], off
.LBB33_17:                              ;   in Loop: Header=BB33_14 Depth=2
	s_or_b32 exec_lo, exec_lo, s1
.LBB33_18:                              ;   in Loop: Header=BB33_14 Depth=2
	s_delay_alu instid0(SALU_CYCLE_1) | instskip(SKIP_2) | instid1(VALU_DEP_1)
	s_or_b32 exec_lo, exec_lo, s40
	v_add_nc_u32_e32 v19, 32, v19
	s_mov_b32 s1, exec_lo
	v_cmpx_le_i32_e64 s23, v19
	s_cbranch_execz .LBB33_13
; %bb.19:                               ;   in Loop: Header=BB33_14 Depth=2
	s_mov_b32 s2, 0
.LBB33_20:                              ;   Parent Loop BB33_6 Depth=1
                                        ;     Parent Loop BB33_14 Depth=2
                                        ; =>    This Inner Loop Header: Depth=3
	v_subrev_nc_u32_e32 v19, s23, v19
	v_add_nc_u32_e32 v20, 1, v20
	s_delay_alu instid0(VALU_DEP_2) | instskip(NEXT) | instid1(VALU_DEP_1)
	v_cmp_gt_i32_e64 s0, s23, v19
	s_or_b32 s2, s0, s2
	s_delay_alu instid0(SALU_CYCLE_1)
	s_and_not1_b32 exec_lo, exec_lo, s2
	s_cbranch_execnz .LBB33_20
; %bb.21:                               ;   in Loop: Header=BB33_14 Depth=2
	s_or_b32 exec_lo, exec_lo, s2
	s_branch .LBB33_13
.LBB33_22:
	s_or_b32 exec_lo, exec_lo, s28
.LBB33_23:
	s_delay_alu instid0(SALU_CYCLE_1) | instskip(SKIP_2) | instid1(SALU_CYCLE_1)
	s_or_b32 exec_lo, exec_lo, s36
	v_lshl_add_u32 v3, v0, 3, 0
	s_bcnt1_i32_b32 s0, s16
	s_cmp_lg_u32 s0, 1
	s_mov_b32 s0, -1
	ds_store_b64 v3, v[1:2]
	s_waitcnt lgkmcnt(0)
	s_barrier
	buffer_gl0_inv
	s_cbranch_scc1 .LBB33_32
; %bb.24:
	s_and_not1_b32 vcc_lo, exec_lo, s0
	s_cbranch_vccnz .LBB33_28
.LBB33_25:
	s_cmp_lt_u32 s16, 2
	s_cbranch_scc0 .LBB33_30
.LBB33_26:
	s_mov_b32 s0, exec_lo
	v_cmpx_eq_u32_e32 0, v0
	s_cbranch_execz .LBB33_28
; %bb.27:
	s_mul_i32 s0, s7, s33
	v_mov_b32_e32 v2, 0
	s_ashr_i32 s1, s0, 31
	s_mul_i32 s6, s8, s6
	s_lshl_b64 s[0:1], s[0:1], 3
	s_mul_i32 s4, s9, s5
	ds_load_b64 v[0:1], v2
	s_add_u32 s2, s34, s0
	s_addc_u32 s8, s35, s1
	s_ashr_i32 s7, s6, 31
	s_delay_alu instid0(SALU_CYCLE_1) | instskip(NEXT) | instid1(SALU_CYCLE_1)
	s_lshl_b64 s[0:1], s[6:7], 3
	s_add_u32 s2, s2, s0
	s_addc_u32 s6, s8, s1
	s_ashr_i32 s5, s4, 31
	s_delay_alu instid0(SALU_CYCLE_1) | instskip(NEXT) | instid1(SALU_CYCLE_1)
	s_lshl_b64 s[0:1], s[4:5], 3
	s_add_u32 s2, s2, s0
	s_mul_i32 s0, s10, s3
	s_addc_u32 s3, s6, s1
	s_ashr_i32 s1, s0, 31
	s_delay_alu instid0(SALU_CYCLE_1) | instskip(NEXT) | instid1(SALU_CYCLE_1)
	s_lshl_b64 s[0:1], s[0:1], 3
	s_add_u32 s0, s2, s0
	s_addc_u32 s1, s3, s1
	s_waitcnt lgkmcnt(0)
	global_store_b64 v2, v[0:1], s[0:1]
.LBB33_28:
	s_nop 0
	s_sendmsg sendmsg(MSG_DEALLOC_VGPRS)
	s_endpgm
	.p2align	6
.LBB33_29:                              ;   in Loop: Header=BB33_30 Depth=1
	s_or_b32 exec_lo, exec_lo, s1
	s_cmp_lt_u32 s16, 4
	s_mov_b32 s16, s0
	s_waitcnt lgkmcnt(0)
	s_barrier
	buffer_gl0_inv
	s_cbranch_scc1 .LBB33_26
.LBB33_30:                              ; =>This Inner Loop Header: Depth=1
	s_lshr_b32 s0, s16, 1
	s_mov_b32 s1, exec_lo
	v_cmpx_gt_u32_e64 s0, v0
	s_cbranch_execz .LBB33_29
; %bb.31:                               ;   in Loop: Header=BB33_30 Depth=1
	v_lshl_add_u32 v1, s0, 3, v3
	ds_load_b64 v[1:2], v1
	ds_load_b64 v[4:5], v3
	s_waitcnt lgkmcnt(0)
	v_add_f64 v[1:2], v[1:2], v[4:5]
	ds_store_b64 v3, v[1:2]
	s_branch .LBB33_29
.LBB33_32:
	s_cbranch_execnz .LBB33_34
; %bb.33:
	; divergent unreachable
	s_cbranch_execz .LBB33_25
	s_branch .LBB33_28
.LBB33_34:
	s_trap 2
	s_sendmsg_rtn_b32 s0, sendmsg(MSG_RTN_GET_DOORBELL)
	s_mov_b32 ttmp2, m0
	s_waitcnt lgkmcnt(0)
	s_and_b32 s0, s0, 0x3ff
	s_delay_alu instid0(SALU_CYCLE_1) | instskip(NEXT) | instid1(SALU_CYCLE_1)
	s_bitset1_b32 s0, 10
	s_mov_b32 m0, s0
	s_sendmsg sendmsg(MSG_INTERRUPT)
	s_mov_b32 m0, ttmp2
.LBB33_35:                              ; =>This Inner Loop Header: Depth=1
	s_sethalt 5
	s_branch .LBB33_35
	.section	.rodata,"a",@progbits
	.p2align	6, 0x0
	.amdhsa_kernel _ZN2at6native12_GLOBAL__N_144conv_depthwise3d_cuda_backward_weight_kernelIddLi2ELi2EEEvN5torch10headeronly6detail27GenericPackedTensorAccessorINS5_14TensorAccessorIN3c108ArrayRefIlEEKT_Lm4ENS4_16DefaultPtrTraitsEiEENS_6detail16IndexBoundsCheckILm5EiEESC_Lm5ESD_iEESI_NS6_INS7_ISA_SB_Lm4ESD_iEESH_SB_Lm5ESD_iEEiiiiiiiii
		.amdhsa_group_segment_fixed_size 0
		.amdhsa_private_segment_fixed_size 0
		.amdhsa_kernarg_size 440
		.amdhsa_user_sgpr_count 15
		.amdhsa_user_sgpr_dispatch_ptr 0
		.amdhsa_user_sgpr_queue_ptr 0
		.amdhsa_user_sgpr_kernarg_segment_ptr 1
		.amdhsa_user_sgpr_dispatch_id 0
		.amdhsa_user_sgpr_private_segment_size 0
		.amdhsa_wavefront_size32 1
		.amdhsa_uses_dynamic_stack 0
		.amdhsa_enable_private_segment 0
		.amdhsa_system_sgpr_workgroup_id_x 1
		.amdhsa_system_sgpr_workgroup_id_y 0
		.amdhsa_system_sgpr_workgroup_id_z 0
		.amdhsa_system_sgpr_workgroup_info 0
		.amdhsa_system_vgpr_workitem_id 0
		.amdhsa_next_free_vgpr 22
		.amdhsa_next_free_sgpr 47
		.amdhsa_reserve_vcc 1
		.amdhsa_float_round_mode_32 0
		.amdhsa_float_round_mode_16_64 0
		.amdhsa_float_denorm_mode_32 3
		.amdhsa_float_denorm_mode_16_64 3
		.amdhsa_dx10_clamp 1
		.amdhsa_ieee_mode 1
		.amdhsa_fp16_overflow 0
		.amdhsa_workgroup_processor_mode 1
		.amdhsa_memory_ordered 1
		.amdhsa_forward_progress 0
		.amdhsa_shared_vgpr_count 0
		.amdhsa_exception_fp_ieee_invalid_op 0
		.amdhsa_exception_fp_denorm_src 0
		.amdhsa_exception_fp_ieee_div_zero 0
		.amdhsa_exception_fp_ieee_overflow 0
		.amdhsa_exception_fp_ieee_underflow 0
		.amdhsa_exception_fp_ieee_inexact 0
		.amdhsa_exception_int_div_zero 0
	.end_amdhsa_kernel
	.section	.text._ZN2at6native12_GLOBAL__N_144conv_depthwise3d_cuda_backward_weight_kernelIddLi2ELi2EEEvN5torch10headeronly6detail27GenericPackedTensorAccessorINS5_14TensorAccessorIN3c108ArrayRefIlEEKT_Lm4ENS4_16DefaultPtrTraitsEiEENS_6detail16IndexBoundsCheckILm5EiEESC_Lm5ESD_iEESI_NS6_INS7_ISA_SB_Lm4ESD_iEESH_SB_Lm5ESD_iEEiiiiiiiii,"axG",@progbits,_ZN2at6native12_GLOBAL__N_144conv_depthwise3d_cuda_backward_weight_kernelIddLi2ELi2EEEvN5torch10headeronly6detail27GenericPackedTensorAccessorINS5_14TensorAccessorIN3c108ArrayRefIlEEKT_Lm4ENS4_16DefaultPtrTraitsEiEENS_6detail16IndexBoundsCheckILm5EiEESC_Lm5ESD_iEESI_NS6_INS7_ISA_SB_Lm4ESD_iEESH_SB_Lm5ESD_iEEiiiiiiiii,comdat
.Lfunc_end33:
	.size	_ZN2at6native12_GLOBAL__N_144conv_depthwise3d_cuda_backward_weight_kernelIddLi2ELi2EEEvN5torch10headeronly6detail27GenericPackedTensorAccessorINS5_14TensorAccessorIN3c108ArrayRefIlEEKT_Lm4ENS4_16DefaultPtrTraitsEiEENS_6detail16IndexBoundsCheckILm5EiEESC_Lm5ESD_iEESI_NS6_INS7_ISA_SB_Lm4ESD_iEESH_SB_Lm5ESD_iEEiiiiiiiii, .Lfunc_end33-_ZN2at6native12_GLOBAL__N_144conv_depthwise3d_cuda_backward_weight_kernelIddLi2ELi2EEEvN5torch10headeronly6detail27GenericPackedTensorAccessorINS5_14TensorAccessorIN3c108ArrayRefIlEEKT_Lm4ENS4_16DefaultPtrTraitsEiEENS_6detail16IndexBoundsCheckILm5EiEESC_Lm5ESD_iEESI_NS6_INS7_ISA_SB_Lm4ESD_iEESH_SB_Lm5ESD_iEEiiiiiiiii
                                        ; -- End function
	.section	.AMDGPU.csdata,"",@progbits
; Kernel info:
; codeLenInByte = 2280
; NumSgprs: 49
; NumVgprs: 22
; ScratchSize: 0
; MemoryBound: 0
; FloatMode: 240
; IeeeMode: 1
; LDSByteSize: 0 bytes/workgroup (compile time only)
; SGPRBlocks: 6
; VGPRBlocks: 2
; NumSGPRsForWavesPerEU: 49
; NumVGPRsForWavesPerEU: 22
; Occupancy: 16
; WaveLimiterHint : 1
; COMPUTE_PGM_RSRC2:SCRATCH_EN: 0
; COMPUTE_PGM_RSRC2:USER_SGPR: 15
; COMPUTE_PGM_RSRC2:TRAP_HANDLER: 0
; COMPUTE_PGM_RSRC2:TGID_X_EN: 1
; COMPUTE_PGM_RSRC2:TGID_Y_EN: 0
; COMPUTE_PGM_RSRC2:TGID_Z_EN: 0
; COMPUTE_PGM_RSRC2:TIDIG_COMP_CNT: 0
	.section	.text._ZN2at6native12_GLOBAL__N_144conv_depthwise3d_cuda_backward_weight_kernelIddLin1ELin1EEEvN5torch10headeronly6detail27GenericPackedTensorAccessorINS5_14TensorAccessorIN3c108ArrayRefIlEEKT_Lm4ENS4_16DefaultPtrTraitsEiEENS_6detail16IndexBoundsCheckILm5EiEESC_Lm5ESD_iEESI_NS6_INS7_ISA_SB_Lm4ESD_iEESH_SB_Lm5ESD_iEEiiiiiiiii,"axG",@progbits,_ZN2at6native12_GLOBAL__N_144conv_depthwise3d_cuda_backward_weight_kernelIddLin1ELin1EEEvN5torch10headeronly6detail27GenericPackedTensorAccessorINS5_14TensorAccessorIN3c108ArrayRefIlEEKT_Lm4ENS4_16DefaultPtrTraitsEiEENS_6detail16IndexBoundsCheckILm5EiEESC_Lm5ESD_iEESI_NS6_INS7_ISA_SB_Lm4ESD_iEESH_SB_Lm5ESD_iEEiiiiiiiii,comdat
	.globl	_ZN2at6native12_GLOBAL__N_144conv_depthwise3d_cuda_backward_weight_kernelIddLin1ELin1EEEvN5torch10headeronly6detail27GenericPackedTensorAccessorINS5_14TensorAccessorIN3c108ArrayRefIlEEKT_Lm4ENS4_16DefaultPtrTraitsEiEENS_6detail16IndexBoundsCheckILm5EiEESC_Lm5ESD_iEESI_NS6_INS7_ISA_SB_Lm4ESD_iEESH_SB_Lm5ESD_iEEiiiiiiiii ; -- Begin function _ZN2at6native12_GLOBAL__N_144conv_depthwise3d_cuda_backward_weight_kernelIddLin1ELin1EEEvN5torch10headeronly6detail27GenericPackedTensorAccessorINS5_14TensorAccessorIN3c108ArrayRefIlEEKT_Lm4ENS4_16DefaultPtrTraitsEiEENS_6detail16IndexBoundsCheckILm5EiEESC_Lm5ESD_iEESI_NS6_INS7_ISA_SB_Lm4ESD_iEESH_SB_Lm5ESD_iEEiiiiiiiii
	.p2align	8
	.type	_ZN2at6native12_GLOBAL__N_144conv_depthwise3d_cuda_backward_weight_kernelIddLin1ELin1EEEvN5torch10headeronly6detail27GenericPackedTensorAccessorINS5_14TensorAccessorIN3c108ArrayRefIlEEKT_Lm4ENS4_16DefaultPtrTraitsEiEENS_6detail16IndexBoundsCheckILm5EiEESC_Lm5ESD_iEESI_NS6_INS7_ISA_SB_Lm4ESD_iEESH_SB_Lm5ESD_iEEiiiiiiiii,@function
_ZN2at6native12_GLOBAL__N_144conv_depthwise3d_cuda_backward_weight_kernelIddLin1ELin1EEEvN5torch10headeronly6detail27GenericPackedTensorAccessorINS5_14TensorAccessorIN3c108ArrayRefIlEEKT_Lm4ENS4_16DefaultPtrTraitsEiEENS_6detail16IndexBoundsCheckILm5EiEESC_Lm5ESD_iEESI_NS6_INS7_ISA_SB_Lm4ESD_iEESH_SB_Lm5ESD_iEEiiiiiiiii: ; @_ZN2at6native12_GLOBAL__N_144conv_depthwise3d_cuda_backward_weight_kernelIddLin1ELin1EEEvN5torch10headeronly6detail27GenericPackedTensorAccessorINS5_14TensorAccessorIN3c108ArrayRefIlEEKT_Lm4ENS4_16DefaultPtrTraitsEiEENS_6detail16IndexBoundsCheckILm5EiEESC_Lm5ESD_iEESI_NS6_INS7_ISA_SB_Lm4ESD_iEESH_SB_Lm5ESD_iEEiiiiiiiii
; %bb.0:
	s_load_b128 s[16:19], s[0:1], 0x70
	s_add_u32 s2, s0, 0x60
	s_addc_u32 s3, s1, 0
	s_clause 0x1
	s_load_b128 s[20:23], s[0:1], 0x3c
	s_load_b128 s[24:27], s[0:1], 0xc
	s_waitcnt lgkmcnt(0)
	v_cvt_f32_u32_e32 v1, s18
	v_cvt_f32_u32_e32 v2, s17
	s_sub_i32 s5, 0, s18
	s_delay_alu instid0(VALU_DEP_2) | instskip(NEXT) | instid1(VALU_DEP_1)
	v_rcp_iflag_f32_e32 v1, v1
	v_rcp_iflag_f32_e32 v2, v2
	s_waitcnt_depctr 0xfff
	v_dual_mul_f32 v1, 0x4f7ffffe, v1 :: v_dual_mul_f32 v2, 0x4f7ffffe, v2
	s_delay_alu instid0(VALU_DEP_1) | instskip(NEXT) | instid1(VALU_DEP_2)
	v_cvt_u32_f32_e32 v1, v1
	v_cvt_u32_f32_e32 v2, v2
	s_delay_alu instid0(VALU_DEP_2) | instskip(SKIP_1) | instid1(VALU_DEP_3)
	v_readfirstlane_b32 s4, v1
	v_cvt_f32_u32_e32 v1, s16
	v_readfirstlane_b32 s8, v2
	s_delay_alu instid0(VALU_DEP_3) | instskip(NEXT) | instid1(VALU_DEP_2)
	s_mul_i32 s5, s5, s4
	v_rcp_iflag_f32_e32 v1, v1
	s_mul_hi_u32 s5, s4, s5
	s_delay_alu instid0(SALU_CYCLE_1) | instskip(NEXT) | instid1(SALU_CYCLE_1)
	s_add_i32 s4, s4, s5
	s_mul_hi_u32 s4, s15, s4
	s_delay_alu instid0(SALU_CYCLE_1)
	s_mul_i32 s5, s4, s18
	s_add_i32 s6, s4, 1
	s_sub_i32 s5, s15, s5
	s_waitcnt_depctr 0xfff
	v_mul_f32_e32 v1, 0x4f7ffffe, v1
	s_sub_i32 s7, s5, s18
	s_cmp_ge_u32 s5, s18
	s_cselect_b32 s4, s6, s4
	s_cselect_b32 s5, s7, s5
	s_add_i32 s6, s4, 1
	s_cmp_ge_u32 s5, s18
	v_cvt_u32_f32_e32 v1, v1
	s_cselect_b32 s12, s6, s4
	s_sub_i32 s4, 0, s17
	s_delay_alu instid0(SALU_CYCLE_1) | instskip(NEXT) | instid1(SALU_CYCLE_1)
	s_mul_i32 s4, s4, s8
	s_mul_hi_u32 s4, s8, s4
	s_delay_alu instid0(SALU_CYCLE_1) | instskip(NEXT) | instid1(SALU_CYCLE_1)
	s_add_i32 s8, s8, s4
	s_mul_hi_u32 s4, s12, s8
	v_readfirstlane_b32 s8, v1
	s_mul_i32 s5, s4, s17
	s_add_i32 s6, s4, 1
	s_sub_i32 s5, s12, s5
	s_delay_alu instid0(SALU_CYCLE_1)
	s_sub_i32 s7, s5, s17
	s_cmp_ge_u32 s5, s17
	s_cselect_b32 s4, s6, s4
	s_cselect_b32 s5, s7, s5
	s_add_i32 s6, s4, 1
	s_cmp_ge_u32 s5, s17
	s_cselect_b32 s13, s6, s4
	s_sub_i32 s4, 0, s16
	s_delay_alu instid0(SALU_CYCLE_1) | instskip(NEXT) | instid1(SALU_CYCLE_1)
	s_mul_i32 s4, s4, s8
	s_mul_hi_u32 s4, s8, s4
	s_delay_alu instid0(SALU_CYCLE_1) | instskip(NEXT) | instid1(SALU_CYCLE_1)
	s_add_i32 s8, s8, s4
	s_mul_hi_u32 s4, s13, s8
	s_delay_alu instid0(SALU_CYCLE_1) | instskip(SKIP_2) | instid1(SALU_CYCLE_1)
	s_mul_i32 s5, s4, s16
	s_add_i32 s6, s4, 1
	s_sub_i32 s5, s13, s5
	s_sub_i32 s7, s5, s16
	s_cmp_ge_u32 s5, s16
	s_cselect_b32 s4, s6, s4
	s_cselect_b32 s5, s7, s5
	s_add_i32 s6, s4, 1
	s_cmp_ge_u32 s5, s16
	s_cselect_b32 s33, s6, s4
	s_abs_i32 s4, s20
	s_abs_i32 s7, s24
	v_cvt_f32_u32_e32 v1, s4
	s_sub_i32 s6, 0, s4
	s_delay_alu instid0(VALU_DEP_1) | instskip(SKIP_2) | instid1(VALU_DEP_1)
	v_rcp_iflag_f32_e32 v1, v1
	s_waitcnt_depctr 0xfff
	v_mul_f32_e32 v1, 0x4f7ffffe, v1
	v_cvt_u32_f32_e32 v1, v1
	s_delay_alu instid0(VALU_DEP_1) | instskip(NEXT) | instid1(VALU_DEP_1)
	v_readfirstlane_b32 s5, v1
	s_mul_i32 s6, s6, s5
	s_delay_alu instid0(SALU_CYCLE_1) | instskip(NEXT) | instid1(SALU_CYCLE_1)
	s_mul_hi_u32 s6, s5, s6
	s_add_i32 s5, s5, s6
	s_xor_b32 s6, s24, s20
	s_mul_hi_u32 s5, s7, s5
	s_ashr_i32 s6, s6, 31
	s_mul_i32 s8, s5, s4
	s_delay_alu instid0(SALU_CYCLE_1)
	s_sub_i32 s7, s7, s8
	s_add_i32 s8, s5, 1
	s_sub_i32 s9, s7, s4
	s_cmp_ge_u32 s7, s4
	s_cselect_b32 s5, s8, s5
	s_cselect_b32 s7, s9, s7
	s_add_i32 s8, s5, 1
	s_cmp_ge_u32 s7, s4
	s_cselect_b32 s4, s8, s5
	s_delay_alu instid0(SALU_CYCLE_1) | instskip(NEXT) | instid1(SALU_CYCLE_1)
	s_xor_b32 s4, s4, s6
	s_sub_i32 s14, s4, s6
	s_load_b32 s4, s[0:1], 0x68
	s_abs_i32 s43, s14
	s_delay_alu instid0(SALU_CYCLE_1) | instskip(NEXT) | instid1(VALU_DEP_1)
	v_cvt_f32_u32_e32 v1, s43
	v_rcp_iflag_f32_e32 v1, v1
	s_waitcnt_depctr 0xfff
	v_mul_f32_e32 v1, 0x4f7ffffe, v1
	s_waitcnt lgkmcnt(0)
	s_cmp_ge_i32 s33, s4
	s_delay_alu instid0(VALU_DEP_1) | instskip(NEXT) | instid1(VALU_DEP_1)
	v_cvt_u32_f32_e32 v1, v1
	v_readfirstlane_b32 s28, v1
	s_cbranch_scc1 .LBB34_28
; %bb.1:
	s_clause 0x1
	s_load_b32 s40, s[0:1], 0x38
	s_load_b128 s[36:39], s[2:3], 0x44
	s_load_b32 s24, s[0:1], 0xc4
	s_clause 0x1
	s_load_b64 s[34:35], s[2:3], 0x0
	s_load_b256 s[4:11], s[2:3], 0x24
	s_mul_i32 s2, s12, s18
	v_mov_b32_e32 v1, 0
	v_lshrrev_b32_e32 v12, 5, v0
	v_mov_b32_e32 v2, 0
	s_sub_i32 s3, s15, s2
	s_mul_i32 s2, s13, s17
	s_mul_i32 s15, s33, s16
	s_sub_i32 s17, s12, s2
	s_sub_i32 s20, s13, s15
	s_mov_b32 s41, exec_lo
	s_waitcnt lgkmcnt(0)
	s_mul_i32 s40, s40, s25
	s_and_b32 s24, s24, 0xffff
	v_cmpx_gt_i32_e64 s40, v12
	s_cbranch_execz .LBB34_23
; %bb.2:
	s_sub_i32 s2, 0, s43
	s_ashr_i32 s18, s14, 31
	s_mul_i32 s2, s2, s28
	s_abs_i32 s29, s33
	s_mul_hi_u32 s2, s28, s2
	s_clause 0x1
	s_load_b64 s[44:45], s[0:1], 0x0
	s_load_b128 s[12:15], s[0:1], 0x1c
	s_add_i32 s28, s28, s2
	s_ashr_i32 s16, s33, 31
	s_mul_hi_u32 s2, s29, s28
	s_lshr_b32 s42, s24, 5
	s_waitcnt lgkmcnt(0)
	s_mul_i32 s15, s2, s43
	s_xor_b32 s16, s16, s18
	s_sub_i32 s15, s29, s15
	s_load_b128 s[28:31], s[0:1], 0x4c
	s_add_i32 s18, s2, 1
	s_sub_i32 s46, s15, s43
	s_cmp_ge_u32 s15, s43
	s_load_b64 s[0:1], s[0:1], 0x30
	s_cselect_b32 s2, s18, s2
	s_cselect_b32 s15, s46, s15
	s_add_i32 s18, s2, 1
	s_cmp_ge_u32 s15, s43
	v_mov_b32_e32 v15, 0
	s_cselect_b32 s2, s18, s2
	s_ashr_i32 s18, s25, 31
	s_mul_i32 s46, s13, s33
	s_xor_b32 s2, s2, s16
	s_ashr_i32 s47, s46, 31
	s_sub_i32 s2, s2, s16
	s_abs_i32 s16, s25
	s_mul_i32 s13, s20, s37
	s_lshl_b64 s[46:47], s[46:47], 3
	s_sub_i32 s43, 0, s16
	s_sub_i32 s10, s13, s10
	s_add_u32 s13, s44, s46
	s_waitcnt lgkmcnt(0)
	s_mul_i32 s44, s29, s2
	s_addc_u32 s15, s45, s47
	s_ashr_i32 s45, s44, 31
	v_cvt_f32_u32_e32 v1, s16
	s_lshl_b64 s[44:45], s[44:45], 3
	s_mov_b32 s37, 0
	s_add_u32 s29, s0, s44
	s_addc_u32 s31, s1, s45
	s_abs_i32 s1, s27
	v_rcp_iflag_f32_e32 v1, v1
	v_cvt_f32_u32_e32 v2, s1
	s_sub_i32 s0, 0, s1
	s_delay_alu instid0(VALU_DEP_1) | instskip(SKIP_2) | instid1(VALU_DEP_1)
	v_rcp_iflag_f32_e32 v2, v2
	s_waitcnt_depctr 0xfff
	v_dual_mul_f32 v1, 0x4f7ffffe, v1 :: v_dual_mul_f32 v2, 0x4f7ffffe, v2
	v_cvt_u32_f32_e32 v1, v1
	s_delay_alu instid0(VALU_DEP_2) | instskip(NEXT) | instid1(VALU_DEP_2)
	v_cvt_u32_f32_e32 v2, v2
	v_mul_lo_u32 v3, s43, v1
	s_delay_alu instid0(VALU_DEP_2) | instskip(NEXT) | instid1(VALU_DEP_2)
	v_mul_lo_u32 v4, s0, v2
	v_mul_hi_u32 v3, v1, v3
	s_delay_alu instid0(VALU_DEP_2) | instskip(NEXT) | instid1(VALU_DEP_2)
	v_mul_hi_u32 v4, v2, v4
	v_add_nc_u32_e32 v1, v1, v3
	v_and_b32_e32 v3, 31, v0
	s_delay_alu instid0(VALU_DEP_2) | instskip(NEXT) | instid1(VALU_DEP_1)
	v_mul_hi_u32 v1, v12, v1
	v_add_nc_u32_e32 v6, 1, v1
	v_add_nc_u32_e32 v2, v2, v4
	v_mul_lo_u32 v4, v1, s16
	s_delay_alu instid0(VALU_DEP_1) | instskip(NEXT) | instid1(VALU_DEP_1)
	v_sub_nc_u32_e32 v4, v12, v4
	v_cmp_le_u32_e32 vcc_lo, s16, v4
	v_cndmask_b32_e32 v1, v1, v6, vcc_lo
	v_mul_hi_u32 v2, v3, v2
	v_subrev_nc_u32_e32 v6, s16, v4
	s_delay_alu instid0(VALU_DEP_1) | instskip(NEXT) | instid1(VALU_DEP_4)
	v_cndmask_b32_e32 v4, v4, v6, vcc_lo
	v_add_nc_u32_e32 v6, 1, v1
	s_delay_alu instid0(VALU_DEP_4) | instskip(SKIP_1) | instid1(VALU_DEP_4)
	v_mul_lo_u32 v5, v2, s1
	v_add_nc_u32_e32 v7, 1, v2
	v_cmp_le_u32_e32 vcc_lo, s16, v4
	s_delay_alu instid0(VALU_DEP_3) | instskip(SKIP_1) | instid1(VALU_DEP_2)
	v_sub_nc_u32_e32 v5, v3, v5
	v_cndmask_b32_e32 v1, v1, v6, vcc_lo
	v_subrev_nc_u32_e32 v8, s1, v5
	v_cmp_le_u32_e64 s0, s1, v5
	s_delay_alu instid0(VALU_DEP_1) | instskip(NEXT) | instid1(VALU_DEP_3)
	v_cndmask_b32_e64 v2, v2, v7, s0
	v_cndmask_b32_e64 v5, v5, v8, s0
	s_ashr_i32 s0, s27, 31
	s_delay_alu instid0(VALU_DEP_2) | instskip(NEXT) | instid1(VALU_DEP_2)
	v_add_nc_u32_e32 v7, 1, v2
	v_cmp_le_u32_e32 vcc_lo, s1, v5
	s_mul_i32 s1, s17, s38
	s_delay_alu instid0(VALU_DEP_2) | instskip(SKIP_2) | instid1(VALU_DEP_3)
	v_cndmask_b32_e32 v2, v2, v7, vcc_lo
	v_lshlrev_b32_e32 v18, 3, v3
	v_xor_b32_e32 v1, s18, v1
	v_xor_b32_e32 v2, s0, v2
	s_delay_alu instid0(VALU_DEP_2) | instskip(SKIP_1) | instid1(VALU_DEP_2)
	v_subrev_nc_u32_e32 v13, s18, v1
	s_sub_i32 s18, s1, s11
	v_subrev_nc_u32_e32 v14, s0, v2
	v_mov_b32_e32 v1, 0
	s_delay_alu instid0(VALU_DEP_3)
	v_mul_lo_u32 v4, v13, s25
	v_mov_b32_e32 v2, 0
	s_mul_i32 s0, s3, s39
	v_mul_lo_u32 v5, v14, s27
	v_cmp_gt_i32_e32 vcc_lo, s26, v14
	s_sub_i32 s16, s0, s36
	s_delay_alu instid0(VALU_DEP_4) | instskip(NEXT) | instid1(VALU_DEP_3)
	v_sub_nc_u32_e32 v16, v12, v4
	v_sub_nc_u32_e32 v17, v3, v5
	s_branch .LBB34_6
.LBB34_3:                               ;   in Loop: Header=BB34_6 Depth=1
	s_or_b32 exec_lo, exec_lo, s38
.LBB34_4:                               ;   in Loop: Header=BB34_6 Depth=1
	s_delay_alu instid0(SALU_CYCLE_1)
	s_or_b32 exec_lo, exec_lo, s36
.LBB34_5:                               ;   in Loop: Header=BB34_6 Depth=1
	s_delay_alu instid0(SALU_CYCLE_1) | instskip(SKIP_2) | instid1(VALU_DEP_2)
	s_or_b32 exec_lo, exec_lo, s11
	v_add_nc_u32_e32 v12, s42, v12
	v_add_nc_u32_e32 v16, s42, v16
	v_cmp_le_i32_e64 s0, s40, v12
	s_delay_alu instid0(VALU_DEP_1) | instskip(NEXT) | instid1(SALU_CYCLE_1)
	s_or_b32 s37, s0, s37
	s_and_not1_b32 exec_lo, exec_lo, s37
	s_cbranch_execz .LBB34_22
.LBB34_6:                               ; =>This Loop Header: Depth=1
                                        ;     Child Loop BB34_8 Depth 2
                                        ;     Child Loop BB34_14 Depth 2
                                        ;       Child Loop BB34_20 Depth 3
	s_mov_b32 s1, exec_lo
	s_delay_alu instid0(VALU_DEP_2)
	v_cmpx_le_i32_e64 s25, v16
	s_cbranch_execz .LBB34_10
; %bb.7:                                ;   in Loop: Header=BB34_6 Depth=1
	s_mov_b32 s2, 0
.LBB34_8:                               ;   Parent Loop BB34_6 Depth=1
                                        ; =>  This Inner Loop Header: Depth=2
	v_subrev_nc_u32_e32 v16, s25, v16
	v_add_nc_u32_e32 v13, 1, v13
	s_delay_alu instid0(VALU_DEP_2) | instskip(NEXT) | instid1(VALU_DEP_1)
	v_cmp_gt_i32_e64 s0, s25, v16
	s_or_b32 s2, s0, s2
	s_delay_alu instid0(SALU_CYCLE_1)
	s_and_not1_b32 exec_lo, exec_lo, s2
	s_cbranch_execnz .LBB34_8
; %bb.9:                                ;   in Loop: Header=BB34_6 Depth=1
	s_or_b32 exec_lo, exec_lo, s2
.LBB34_10:                              ;   in Loop: Header=BB34_6 Depth=1
	s_delay_alu instid0(SALU_CYCLE_1) | instskip(SKIP_1) | instid1(VALU_DEP_1)
	s_or_b32 exec_lo, exec_lo, s1
	v_mad_u64_u32 v[3:4], null, v16, s7, s[10:11]
	v_cmp_lt_i32_e64 s0, -1, v3
	v_cmp_gt_i32_e64 s1, s21, v3
	s_delay_alu instid0(VALU_DEP_1) | instskip(NEXT) | instid1(SALU_CYCLE_1)
	s_and_b32 s0, s0, s1
	s_and_saveexec_b32 s11, s0
	s_cbranch_execz .LBB34_5
; %bb.11:                               ;   in Loop: Header=BB34_6 Depth=1
	s_and_saveexec_b32 s36, vcc_lo
	s_cbranch_execz .LBB34_4
; %bb.12:                               ;   in Loop: Header=BB34_6 Depth=1
	v_mul_lo_u32 v4, s12, v13
	v_mul_lo_u32 v6, s28, v13
	;; [unrolled: 1-line block ×4, first 2 shown]
	v_dual_mov_b32 v21, v17 :: v_dual_mov_b32 v22, v14
	s_mov_b32 s38, 0
	v_ashrrev_i32_e32 v5, 31, v4
	v_ashrrev_i32_e32 v7, 31, v6
	;; [unrolled: 1-line block ×4, first 2 shown]
	s_delay_alu instid0(VALU_DEP_4) | instskip(NEXT) | instid1(VALU_DEP_4)
	v_lshlrev_b64 v[3:4], 3, v[4:5]
	v_lshlrev_b64 v[5:6], 3, v[6:7]
	s_delay_alu instid0(VALU_DEP_4) | instskip(NEXT) | instid1(VALU_DEP_4)
	v_lshlrev_b64 v[7:8], 3, v[8:9]
	v_lshlrev_b64 v[9:10], 3, v[10:11]
	s_delay_alu instid0(VALU_DEP_4) | instskip(NEXT) | instid1(VALU_DEP_1)
	v_add_co_u32 v3, s0, s13, v3
	v_add_co_ci_u32_e64 v4, s0, s15, v4, s0
	v_add_co_u32 v5, s0, s29, v5
	s_delay_alu instid0(VALU_DEP_1) | instskip(NEXT) | instid1(VALU_DEP_4)
	v_add_co_ci_u32_e64 v6, s0, s31, v6, s0
	v_add_co_u32 v3, s0, v3, v9
	s_delay_alu instid0(VALU_DEP_1) | instskip(NEXT) | instid1(VALU_DEP_4)
	;; [unrolled: 3-line block ×3, first 2 shown]
	v_add_co_ci_u32_e64 v20, s0, v6, v8, s0
	v_add_co_u32 v3, s0, v3, v18
	s_delay_alu instid0(VALU_DEP_1)
	v_add_co_ci_u32_e64 v4, s0, 0, v4, s0
	s_branch .LBB34_14
.LBB34_13:                              ;   in Loop: Header=BB34_14 Depth=2
	s_or_b32 exec_lo, exec_lo, s1
	s_waitcnt vmcnt(0)
	v_fma_f64 v[1:2], v[5:6], v[7:8], v[1:2]
	v_cmp_le_i32_e64 s0, s26, v22
	v_add_co_u32 v3, s1, 0x100, v3
	s_delay_alu instid0(VALU_DEP_1) | instskip(NEXT) | instid1(VALU_DEP_3)
	v_add_co_ci_u32_e64 v4, s1, 0, v4, s1
	s_or_b32 s38, s0, s38
	s_delay_alu instid0(SALU_CYCLE_1)
	s_and_not1_b32 exec_lo, exec_lo, s38
	s_cbranch_execz .LBB34_3
.LBB34_14:                              ;   Parent Loop BB34_6 Depth=1
                                        ; =>  This Loop Header: Depth=2
                                        ;       Child Loop BB34_20 Depth 3
	global_load_b64 v[5:6], v[3:4], off
	v_mad_u64_u32 v[9:10], null, v21, s9, s[16:17]
	v_mov_b32_e32 v7, 0
	v_mov_b32_e32 v8, 0
	s_mov_b32 s39, exec_lo
	s_delay_alu instid0(VALU_DEP_3)
	v_cmpx_lt_i32_e32 -1, v9
	s_cbranch_execz .LBB34_18
; %bb.15:                               ;   in Loop: Header=BB34_14 Depth=2
	v_mad_u64_u32 v[10:11], null, v22, s8, s[18:19]
	v_cmp_gt_i32_e64 s0, s23, v9
	v_mov_b32_e32 v7, 0
	v_mov_b32_e32 v8, 0
	s_delay_alu instid0(VALU_DEP_4) | instskip(SKIP_1) | instid1(VALU_DEP_2)
	v_cmp_gt_i32_e64 s1, s22, v10
	v_cmp_lt_i32_e64 s2, -1, v10
	s_and_b32 s0, s0, s1
	s_delay_alu instid0(VALU_DEP_1) | instid1(SALU_CYCLE_1)
	s_and_b32 s0, s0, s2
	s_delay_alu instid0(SALU_CYCLE_1)
	s_and_saveexec_b32 s1, s0
	s_cbranch_execz .LBB34_17
; %bb.16:                               ;   in Loop: Header=BB34_14 Depth=2
	v_mad_u64_u32 v[7:8], null, v10, s23, v[9:10]
	v_mov_b32_e32 v8, v15
	s_delay_alu instid0(VALU_DEP_1) | instskip(NEXT) | instid1(VALU_DEP_1)
	v_lshlrev_b64 v[7:8], 3, v[7:8]
	v_add_co_u32 v7, s0, v19, v7
	s_delay_alu instid0(VALU_DEP_1)
	v_add_co_ci_u32_e64 v8, s0, v20, v8, s0
	global_load_b64 v[7:8], v[7:8], off
.LBB34_17:                              ;   in Loop: Header=BB34_14 Depth=2
	s_or_b32 exec_lo, exec_lo, s1
.LBB34_18:                              ;   in Loop: Header=BB34_14 Depth=2
	s_delay_alu instid0(SALU_CYCLE_1) | instskip(SKIP_2) | instid1(VALU_DEP_1)
	s_or_b32 exec_lo, exec_lo, s39
	v_add_nc_u32_e32 v21, 32, v21
	s_mov_b32 s1, exec_lo
	v_cmpx_le_i32_e64 s27, v21
	s_cbranch_execz .LBB34_13
; %bb.19:                               ;   in Loop: Header=BB34_14 Depth=2
	s_mov_b32 s2, 0
.LBB34_20:                              ;   Parent Loop BB34_6 Depth=1
                                        ;     Parent Loop BB34_14 Depth=2
                                        ; =>    This Inner Loop Header: Depth=3
	v_subrev_nc_u32_e32 v21, s27, v21
	v_add_nc_u32_e32 v22, 1, v22
	s_delay_alu instid0(VALU_DEP_2) | instskip(NEXT) | instid1(VALU_DEP_1)
	v_cmp_gt_i32_e64 s0, s27, v21
	s_or_b32 s2, s0, s2
	s_delay_alu instid0(SALU_CYCLE_1)
	s_and_not1_b32 exec_lo, exec_lo, s2
	s_cbranch_execnz .LBB34_20
; %bb.21:                               ;   in Loop: Header=BB34_14 Depth=2
	s_or_b32 exec_lo, exec_lo, s2
	s_branch .LBB34_13
.LBB34_22:
	s_or_b32 exec_lo, exec_lo, s37
.LBB34_23:
	s_delay_alu instid0(SALU_CYCLE_1) | instskip(SKIP_2) | instid1(SALU_CYCLE_1)
	s_or_b32 exec_lo, exec_lo, s41
	v_lshl_add_u32 v3, v0, 3, 0
	s_bcnt1_i32_b32 s0, s24
	s_cmp_lg_u32 s0, 1
	s_mov_b32 s0, -1
	ds_store_b64 v3, v[1:2]
	s_waitcnt lgkmcnt(0)
	s_barrier
	buffer_gl0_inv
	s_cbranch_scc1 .LBB34_32
; %bb.24:
	s_and_not1_b32 vcc_lo, exec_lo, s0
	s_cbranch_vccnz .LBB34_28
.LBB34_25:
	s_cmp_lt_u32 s24, 2
	s_cbranch_scc0 .LBB34_30
.LBB34_26:
	s_mov_b32 s0, exec_lo
	v_cmpx_eq_u32_e32 0, v0
	s_cbranch_execz .LBB34_28
; %bb.27:
	s_mul_i32 s0, s19, s33
	v_mov_b32_e32 v2, 0
	s_ashr_i32 s1, s0, 31
	s_mul_i32 s8, s4, s20
	s_lshl_b64 s[0:1], s[0:1], 3
	s_mul_i32 s4, s5, s17
	ds_load_b64 v[0:1], v2
	s_add_u32 s2, s34, s0
	s_addc_u32 s7, s35, s1
	s_ashr_i32 s9, s8, 31
	s_delay_alu instid0(SALU_CYCLE_1) | instskip(NEXT) | instid1(SALU_CYCLE_1)
	s_lshl_b64 s[0:1], s[8:9], 3
	s_add_u32 s2, s2, s0
	s_addc_u32 s7, s7, s1
	s_ashr_i32 s5, s4, 31
	s_delay_alu instid0(SALU_CYCLE_1) | instskip(NEXT) | instid1(SALU_CYCLE_1)
	s_lshl_b64 s[0:1], s[4:5], 3
	s_add_u32 s2, s2, s0
	s_mul_i32 s0, s6, s3
	s_addc_u32 s3, s7, s1
	s_ashr_i32 s1, s0, 31
	s_delay_alu instid0(SALU_CYCLE_1) | instskip(NEXT) | instid1(SALU_CYCLE_1)
	s_lshl_b64 s[0:1], s[0:1], 3
	s_add_u32 s0, s2, s0
	s_addc_u32 s1, s3, s1
	s_waitcnt lgkmcnt(0)
	global_store_b64 v2, v[0:1], s[0:1]
.LBB34_28:
	s_nop 0
	s_sendmsg sendmsg(MSG_DEALLOC_VGPRS)
	s_endpgm
	.p2align	6
.LBB34_29:                              ;   in Loop: Header=BB34_30 Depth=1
	s_or_b32 exec_lo, exec_lo, s1
	s_cmp_lt_u32 s24, 4
	s_mov_b32 s24, s0
	s_waitcnt lgkmcnt(0)
	s_barrier
	buffer_gl0_inv
	s_cbranch_scc1 .LBB34_26
.LBB34_30:                              ; =>This Inner Loop Header: Depth=1
	s_lshr_b32 s0, s24, 1
	s_mov_b32 s1, exec_lo
	v_cmpx_gt_u32_e64 s0, v0
	s_cbranch_execz .LBB34_29
; %bb.31:                               ;   in Loop: Header=BB34_30 Depth=1
	v_lshl_add_u32 v1, s0, 3, v3
	ds_load_b64 v[1:2], v1
	ds_load_b64 v[4:5], v3
	s_waitcnt lgkmcnt(0)
	v_add_f64 v[1:2], v[1:2], v[4:5]
	ds_store_b64 v3, v[1:2]
	s_branch .LBB34_29
.LBB34_32:
	s_cbranch_execnz .LBB34_34
; %bb.33:
	; divergent unreachable
	s_cbranch_execz .LBB34_25
	s_branch .LBB34_28
.LBB34_34:
	s_trap 2
	s_sendmsg_rtn_b32 s0, sendmsg(MSG_RTN_GET_DOORBELL)
	s_mov_b32 ttmp2, m0
	s_waitcnt lgkmcnt(0)
	s_and_b32 s0, s0, 0x3ff
	s_delay_alu instid0(SALU_CYCLE_1) | instskip(NEXT) | instid1(SALU_CYCLE_1)
	s_bitset1_b32 s0, 10
	s_mov_b32 m0, s0
	s_sendmsg sendmsg(MSG_INTERRUPT)
	s_mov_b32 m0, ttmp2
.LBB34_35:                              ; =>This Inner Loop Header: Depth=1
	s_sethalt 5
	s_branch .LBB34_35
	.section	.rodata,"a",@progbits
	.p2align	6, 0x0
	.amdhsa_kernel _ZN2at6native12_GLOBAL__N_144conv_depthwise3d_cuda_backward_weight_kernelIddLin1ELin1EEEvN5torch10headeronly6detail27GenericPackedTensorAccessorINS5_14TensorAccessorIN3c108ArrayRefIlEEKT_Lm4ENS4_16DefaultPtrTraitsEiEENS_6detail16IndexBoundsCheckILm5EiEESC_Lm5ESD_iEESI_NS6_INS7_ISA_SB_Lm4ESD_iEESH_SB_Lm5ESD_iEEiiiiiiiii
		.amdhsa_group_segment_fixed_size 0
		.amdhsa_private_segment_fixed_size 0
		.amdhsa_kernarg_size 440
		.amdhsa_user_sgpr_count 15
		.amdhsa_user_sgpr_dispatch_ptr 0
		.amdhsa_user_sgpr_queue_ptr 0
		.amdhsa_user_sgpr_kernarg_segment_ptr 1
		.amdhsa_user_sgpr_dispatch_id 0
		.amdhsa_user_sgpr_private_segment_size 0
		.amdhsa_wavefront_size32 1
		.amdhsa_uses_dynamic_stack 0
		.amdhsa_enable_private_segment 0
		.amdhsa_system_sgpr_workgroup_id_x 1
		.amdhsa_system_sgpr_workgroup_id_y 0
		.amdhsa_system_sgpr_workgroup_id_z 0
		.amdhsa_system_sgpr_workgroup_info 0
		.amdhsa_system_vgpr_workitem_id 0
		.amdhsa_next_free_vgpr 23
		.amdhsa_next_free_sgpr 48
		.amdhsa_reserve_vcc 1
		.amdhsa_float_round_mode_32 0
		.amdhsa_float_round_mode_16_64 0
		.amdhsa_float_denorm_mode_32 3
		.amdhsa_float_denorm_mode_16_64 3
		.amdhsa_dx10_clamp 1
		.amdhsa_ieee_mode 1
		.amdhsa_fp16_overflow 0
		.amdhsa_workgroup_processor_mode 1
		.amdhsa_memory_ordered 1
		.amdhsa_forward_progress 0
		.amdhsa_shared_vgpr_count 0
		.amdhsa_exception_fp_ieee_invalid_op 0
		.amdhsa_exception_fp_denorm_src 0
		.amdhsa_exception_fp_ieee_div_zero 0
		.amdhsa_exception_fp_ieee_overflow 0
		.amdhsa_exception_fp_ieee_underflow 0
		.amdhsa_exception_fp_ieee_inexact 0
		.amdhsa_exception_int_div_zero 0
	.end_amdhsa_kernel
	.section	.text._ZN2at6native12_GLOBAL__N_144conv_depthwise3d_cuda_backward_weight_kernelIddLin1ELin1EEEvN5torch10headeronly6detail27GenericPackedTensorAccessorINS5_14TensorAccessorIN3c108ArrayRefIlEEKT_Lm4ENS4_16DefaultPtrTraitsEiEENS_6detail16IndexBoundsCheckILm5EiEESC_Lm5ESD_iEESI_NS6_INS7_ISA_SB_Lm4ESD_iEESH_SB_Lm5ESD_iEEiiiiiiiii,"axG",@progbits,_ZN2at6native12_GLOBAL__N_144conv_depthwise3d_cuda_backward_weight_kernelIddLin1ELin1EEEvN5torch10headeronly6detail27GenericPackedTensorAccessorINS5_14TensorAccessorIN3c108ArrayRefIlEEKT_Lm4ENS4_16DefaultPtrTraitsEiEENS_6detail16IndexBoundsCheckILm5EiEESC_Lm5ESD_iEESI_NS6_INS7_ISA_SB_Lm4ESD_iEESH_SB_Lm5ESD_iEEiiiiiiiii,comdat
.Lfunc_end34:
	.size	_ZN2at6native12_GLOBAL__N_144conv_depthwise3d_cuda_backward_weight_kernelIddLin1ELin1EEEvN5torch10headeronly6detail27GenericPackedTensorAccessorINS5_14TensorAccessorIN3c108ArrayRefIlEEKT_Lm4ENS4_16DefaultPtrTraitsEiEENS_6detail16IndexBoundsCheckILm5EiEESC_Lm5ESD_iEESI_NS6_INS7_ISA_SB_Lm4ESD_iEESH_SB_Lm5ESD_iEEiiiiiiiii, .Lfunc_end34-_ZN2at6native12_GLOBAL__N_144conv_depthwise3d_cuda_backward_weight_kernelIddLin1ELin1EEEvN5torch10headeronly6detail27GenericPackedTensorAccessorINS5_14TensorAccessorIN3c108ArrayRefIlEEKT_Lm4ENS4_16DefaultPtrTraitsEiEENS_6detail16IndexBoundsCheckILm5EiEESC_Lm5ESD_iEESI_NS6_INS7_ISA_SB_Lm4ESD_iEESH_SB_Lm5ESD_iEEiiiiiiiii
                                        ; -- End function
	.section	.AMDGPU.csdata,"",@progbits
; Kernel info:
; codeLenInByte = 2264
; NumSgprs: 50
; NumVgprs: 23
; ScratchSize: 0
; MemoryBound: 0
; FloatMode: 240
; IeeeMode: 1
; LDSByteSize: 0 bytes/workgroup (compile time only)
; SGPRBlocks: 6
; VGPRBlocks: 2
; NumSGPRsForWavesPerEU: 50
; NumVGPRsForWavesPerEU: 23
; Occupancy: 16
; WaveLimiterHint : 1
; COMPUTE_PGM_RSRC2:SCRATCH_EN: 0
; COMPUTE_PGM_RSRC2:USER_SGPR: 15
; COMPUTE_PGM_RSRC2:TRAP_HANDLER: 0
; COMPUTE_PGM_RSRC2:TGID_X_EN: 1
; COMPUTE_PGM_RSRC2:TGID_Y_EN: 0
; COMPUTE_PGM_RSRC2:TGID_Z_EN: 0
; COMPUTE_PGM_RSRC2:TIDIG_COMP_CNT: 0
	.section	.text._ZN2at6native12_GLOBAL__N_144conv_depthwise3d_cuda_backward_weight_kernelIffLi1ELi1EEEvN5torch10headeronly6detail27GenericPackedTensorAccessorINS5_14TensorAccessorIN3c108ArrayRefIlEEKT_Lm4ENS4_16DefaultPtrTraitsEiEENS_6detail16IndexBoundsCheckILm5EiEESC_Lm5ESD_iEESI_NS6_INS7_ISA_SB_Lm4ESD_iEESH_SB_Lm5ESD_iEEiiiiiiiii,"axG",@progbits,_ZN2at6native12_GLOBAL__N_144conv_depthwise3d_cuda_backward_weight_kernelIffLi1ELi1EEEvN5torch10headeronly6detail27GenericPackedTensorAccessorINS5_14TensorAccessorIN3c108ArrayRefIlEEKT_Lm4ENS4_16DefaultPtrTraitsEiEENS_6detail16IndexBoundsCheckILm5EiEESC_Lm5ESD_iEESI_NS6_INS7_ISA_SB_Lm4ESD_iEESH_SB_Lm5ESD_iEEiiiiiiiii,comdat
	.globl	_ZN2at6native12_GLOBAL__N_144conv_depthwise3d_cuda_backward_weight_kernelIffLi1ELi1EEEvN5torch10headeronly6detail27GenericPackedTensorAccessorINS5_14TensorAccessorIN3c108ArrayRefIlEEKT_Lm4ENS4_16DefaultPtrTraitsEiEENS_6detail16IndexBoundsCheckILm5EiEESC_Lm5ESD_iEESI_NS6_INS7_ISA_SB_Lm4ESD_iEESH_SB_Lm5ESD_iEEiiiiiiiii ; -- Begin function _ZN2at6native12_GLOBAL__N_144conv_depthwise3d_cuda_backward_weight_kernelIffLi1ELi1EEEvN5torch10headeronly6detail27GenericPackedTensorAccessorINS5_14TensorAccessorIN3c108ArrayRefIlEEKT_Lm4ENS4_16DefaultPtrTraitsEiEENS_6detail16IndexBoundsCheckILm5EiEESC_Lm5ESD_iEESI_NS6_INS7_ISA_SB_Lm4ESD_iEESH_SB_Lm5ESD_iEEiiiiiiiii
	.p2align	8
	.type	_ZN2at6native12_GLOBAL__N_144conv_depthwise3d_cuda_backward_weight_kernelIffLi1ELi1EEEvN5torch10headeronly6detail27GenericPackedTensorAccessorINS5_14TensorAccessorIN3c108ArrayRefIlEEKT_Lm4ENS4_16DefaultPtrTraitsEiEENS_6detail16IndexBoundsCheckILm5EiEESC_Lm5ESD_iEESI_NS6_INS7_ISA_SB_Lm4ESD_iEESH_SB_Lm5ESD_iEEiiiiiiiii,@function
_ZN2at6native12_GLOBAL__N_144conv_depthwise3d_cuda_backward_weight_kernelIffLi1ELi1EEEvN5torch10headeronly6detail27GenericPackedTensorAccessorINS5_14TensorAccessorIN3c108ArrayRefIlEEKT_Lm4ENS4_16DefaultPtrTraitsEiEENS_6detail16IndexBoundsCheckILm5EiEESC_Lm5ESD_iEESI_NS6_INS7_ISA_SB_Lm4ESD_iEESH_SB_Lm5ESD_iEEiiiiiiiii: ; @_ZN2at6native12_GLOBAL__N_144conv_depthwise3d_cuda_backward_weight_kernelIffLi1ELi1EEEvN5torch10headeronly6detail27GenericPackedTensorAccessorINS5_14TensorAccessorIN3c108ArrayRefIlEEKT_Lm4ENS4_16DefaultPtrTraitsEiEENS_6detail16IndexBoundsCheckILm5EiEESC_Lm5ESD_iEESI_NS6_INS7_ISA_SB_Lm4ESD_iEESH_SB_Lm5ESD_iEEiiiiiiiii
; %bb.0:
	s_load_b128 s[4:7], s[0:1], 0x70
	s_add_u32 s2, s0, 0x60
	s_addc_u32 s3, s1, 0
	s_clause 0x1
	s_load_b128 s[16:19], s[0:1], 0x3c
	s_load_b128 s[20:23], s[0:1], 0xc
	s_waitcnt lgkmcnt(0)
	v_cvt_f32_u32_e32 v1, s6
	v_cvt_f32_u32_e32 v2, s5
	s_sub_i32 s9, 0, s6
	s_delay_alu instid0(VALU_DEP_2) | instskip(NEXT) | instid1(VALU_DEP_1)
	v_rcp_iflag_f32_e32 v1, v1
	v_rcp_iflag_f32_e32 v2, v2
	s_waitcnt_depctr 0xfff
	v_dual_mul_f32 v1, 0x4f7ffffe, v1 :: v_dual_mul_f32 v2, 0x4f7ffffe, v2
	s_delay_alu instid0(VALU_DEP_1) | instskip(NEXT) | instid1(VALU_DEP_2)
	v_cvt_u32_f32_e32 v1, v1
	v_cvt_u32_f32_e32 v2, v2
	s_delay_alu instid0(VALU_DEP_2) | instskip(SKIP_1) | instid1(VALU_DEP_3)
	v_readfirstlane_b32 s8, v1
	v_cvt_f32_u32_e32 v1, s4
	v_readfirstlane_b32 s13, v2
	s_delay_alu instid0(VALU_DEP_3) | instskip(NEXT) | instid1(VALU_DEP_2)
	s_mul_i32 s9, s9, s8
	v_rcp_iflag_f32_e32 v1, v1
	s_mul_hi_u32 s9, s8, s9
	s_delay_alu instid0(SALU_CYCLE_1) | instskip(NEXT) | instid1(SALU_CYCLE_1)
	s_add_i32 s8, s8, s9
	s_mul_hi_u32 s8, s15, s8
	s_delay_alu instid0(SALU_CYCLE_1)
	s_mul_i32 s9, s8, s6
	s_add_i32 s10, s8, 1
	s_sub_i32 s9, s15, s9
	s_waitcnt_depctr 0xfff
	v_mul_f32_e32 v1, 0x4f7ffffe, v1
	s_sub_i32 s11, s9, s6
	s_cmp_ge_u32 s9, s6
	s_cselect_b32 s8, s10, s8
	s_cselect_b32 s9, s11, s9
	s_add_i32 s10, s8, 1
	s_cmp_ge_u32 s9, s6
	v_cvt_u32_f32_e32 v1, v1
	s_cselect_b32 s12, s10, s8
	s_sub_i32 s8, 0, s5
	s_delay_alu instid0(SALU_CYCLE_1) | instskip(NEXT) | instid1(VALU_DEP_1)
	s_mul_i32 s8, s8, s13
	v_readfirstlane_b32 s14, v1
	s_mul_hi_u32 s8, s13, s8
	s_delay_alu instid0(SALU_CYCLE_1) | instskip(NEXT) | instid1(SALU_CYCLE_1)
	s_add_i32 s13, s13, s8
	s_mul_hi_u32 s8, s12, s13
	s_delay_alu instid0(SALU_CYCLE_1) | instskip(SKIP_2) | instid1(SALU_CYCLE_1)
	s_mul_i32 s9, s8, s5
	s_add_i32 s10, s8, 1
	s_sub_i32 s9, s12, s9
	s_sub_i32 s11, s9, s5
	s_cmp_ge_u32 s9, s5
	s_cselect_b32 s8, s10, s8
	s_cselect_b32 s9, s11, s9
	s_add_i32 s10, s8, 1
	s_cmp_ge_u32 s9, s5
	s_cselect_b32 s13, s10, s8
	s_sub_i32 s8, 0, s4
	s_delay_alu instid0(SALU_CYCLE_1) | instskip(NEXT) | instid1(SALU_CYCLE_1)
	s_mul_i32 s8, s8, s14
	s_mul_hi_u32 s8, s14, s8
	s_delay_alu instid0(SALU_CYCLE_1) | instskip(NEXT) | instid1(SALU_CYCLE_1)
	s_add_i32 s14, s14, s8
	s_mul_hi_u32 s8, s13, s14
	s_delay_alu instid0(SALU_CYCLE_1) | instskip(SKIP_2) | instid1(SALU_CYCLE_1)
	s_mul_i32 s9, s8, s4
	s_add_i32 s10, s8, 1
	s_sub_i32 s9, s13, s9
	s_sub_i32 s11, s9, s4
	s_cmp_ge_u32 s9, s4
	s_cselect_b32 s8, s10, s8
	s_cselect_b32 s9, s11, s9
	s_add_i32 s10, s8, 1
	s_cmp_ge_u32 s9, s4
	s_cselect_b32 s33, s10, s8
	s_abs_i32 s8, s16
	s_abs_i32 s11, s20
	v_cvt_f32_u32_e32 v1, s8
	s_sub_i32 s10, 0, s8
	s_delay_alu instid0(VALU_DEP_1) | instskip(SKIP_2) | instid1(VALU_DEP_1)
	v_rcp_iflag_f32_e32 v1, v1
	s_waitcnt_depctr 0xfff
	v_mul_f32_e32 v1, 0x4f7ffffe, v1
	v_cvt_u32_f32_e32 v1, v1
	s_delay_alu instid0(VALU_DEP_1) | instskip(NEXT) | instid1(VALU_DEP_1)
	v_readfirstlane_b32 s9, v1
	s_mul_i32 s10, s10, s9
	s_delay_alu instid0(SALU_CYCLE_1) | instskip(NEXT) | instid1(SALU_CYCLE_1)
	s_mul_hi_u32 s10, s9, s10
	s_add_i32 s9, s9, s10
	s_xor_b32 s10, s20, s16
	s_mul_hi_u32 s9, s11, s9
	s_ashr_i32 s10, s10, 31
	s_mul_i32 s14, s9, s8
	s_delay_alu instid0(SALU_CYCLE_1)
	s_sub_i32 s11, s11, s14
	s_add_i32 s14, s9, 1
	s_sub_i32 s16, s11, s8
	s_cmp_ge_u32 s11, s8
	s_cselect_b32 s9, s14, s9
	s_cselect_b32 s11, s16, s11
	s_add_i32 s14, s9, 1
	s_cmp_ge_u32 s11, s8
	s_cselect_b32 s8, s14, s9
	s_delay_alu instid0(SALU_CYCLE_1) | instskip(NEXT) | instid1(SALU_CYCLE_1)
	s_xor_b32 s8, s8, s10
	s_sub_i32 s14, s8, s10
	s_load_b32 s8, s[0:1], 0x68
	s_abs_i32 s38, s14
	s_delay_alu instid0(SALU_CYCLE_1) | instskip(NEXT) | instid1(VALU_DEP_1)
	v_cvt_f32_u32_e32 v1, s38
	v_rcp_iflag_f32_e32 v1, v1
	s_waitcnt_depctr 0xfff
	v_mul_f32_e32 v1, 0x4f7ffffe, v1
	s_waitcnt lgkmcnt(0)
	s_cmp_ge_i32 s33, s8
	s_delay_alu instid0(VALU_DEP_1) | instskip(NEXT) | instid1(VALU_DEP_1)
	v_cvt_u32_f32_e32 v1, v1
	v_readfirstlane_b32 s24, v1
	s_cbranch_scc1 .LBB35_28
; %bb.1:
	s_clause 0x1
	s_load_b32 s20, s[0:1], 0x38
	s_load_b32 s16, s[0:1], 0xc4
	s_clause 0x1
	s_load_b64 s[34:35], s[2:3], 0x0
	s_load_b128 s[8:11], s[2:3], 0x24
	v_lshrrev_b32_e32 v4, 5, v0
	v_mov_b32_e32 v5, 0
	s_mul_i32 s2, s12, s6
	s_mul_i32 s5, s13, s5
	;; [unrolled: 1-line block ×3, first 2 shown]
	s_sub_i32 s3, s15, s2
	s_sub_i32 s5, s12, s5
	;; [unrolled: 1-line block ×3, first 2 shown]
	s_mov_b32 s36, exec_lo
	s_waitcnt lgkmcnt(0)
	s_mul_i32 s20, s20, s21
	s_and_b32 s16, s16, 0xffff
	v_cmpx_gt_i32_e64 s20, v4
	s_cbranch_execz .LBB35_23
; %bb.2:
	s_sub_i32 s2, 0, s38
	s_abs_i32 s26, s33
	s_mul_i32 s2, s2, s24
	s_ashr_i32 s25, s14, 31
	s_mul_hi_u32 s2, s24, s2
	s_clause 0x2
	s_load_b128 s[28:31], s[0:1], 0x9c
	s_load_b64 s[40:41], s[0:1], 0x0
	s_load_b128 s[12:15], s[0:1], 0x1c
	s_add_i32 s24, s24, s2
	s_ashr_i32 s4, s33, 31
	s_mul_hi_u32 s2, s26, s24
	s_lshr_b32 s37, s16, 5
	s_waitcnt lgkmcnt(0)
	s_mul_i32 s15, s2, s38
	s_xor_b32 s4, s4, s25
	s_sub_i32 s15, s26, s15
	s_add_i32 s39, s2, 1
	s_sub_i32 s42, s15, s38
	s_load_b128 s[24:27], s[0:1], 0x4c
	s_cmp_ge_u32 s15, s38
	s_cselect_b32 s2, s39, s2
	s_cselect_b32 s15, s42, s15
	s_waitcnt lgkmcnt(0)
	s_add_i32 s27, s2, 1
	s_cmp_ge_u32 s15, s38
	s_clause 0x1
	s_load_b64 s[38:39], s[0:1], 0x30
	s_load_b64 s[42:43], s[0:1], 0xac
	s_cselect_b32 s2, s27, s2
	s_mul_i32 s0, s13, s33
	s_xor_b32 s2, s2, s4
	s_ashr_i32 s1, s0, 31
	s_sub_i32 s2, s2, s4
	s_abs_i32 s45, s21
	s_mul_i32 s4, s6, s31
	s_lshl_b64 s[0:1], s[0:1], 2
	s_ashr_i32 s44, s21, 31
	s_sub_i32 s46, 0, s45
	s_sub_i32 s4, s4, s28
	s_add_u32 s13, s40, s0
	s_mul_i32 s0, s25, s2
	s_addc_u32 s15, s41, s1
	s_ashr_i32 s1, s0, 31
	v_cvt_f32_u32_e32 v1, s45
	s_lshl_b64 s[0:1], s[0:1], 2
	s_mov_b32 s28, 0
	s_waitcnt lgkmcnt(0)
	s_add_u32 s25, s38, s0
	s_addc_u32 s27, s39, s1
	s_abs_i32 s1, s23
	v_rcp_iflag_f32_e32 v1, v1
	v_cvt_f32_u32_e32 v2, s1
	s_sub_i32 s0, 0, s1
	s_delay_alu instid0(VALU_DEP_1) | instskip(SKIP_2) | instid1(VALU_DEP_1)
	v_rcp_iflag_f32_e32 v2, v2
	s_waitcnt_depctr 0xfff
	v_dual_mul_f32 v1, 0x4f7ffffe, v1 :: v_dual_mul_f32 v2, 0x4f7ffffe, v2
	v_cvt_u32_f32_e32 v1, v1
	s_delay_alu instid0(VALU_DEP_2) | instskip(NEXT) | instid1(VALU_DEP_2)
	v_cvt_u32_f32_e32 v2, v2
	v_mul_lo_u32 v3, s46, v1
	s_delay_alu instid0(VALU_DEP_2) | instskip(NEXT) | instid1(VALU_DEP_2)
	v_mul_lo_u32 v5, s0, v2
	v_mul_hi_u32 v3, v1, v3
	s_delay_alu instid0(VALU_DEP_2) | instskip(NEXT) | instid1(VALU_DEP_2)
	v_mul_hi_u32 v5, v2, v5
	v_add_nc_u32_e32 v1, v1, v3
	v_and_b32_e32 v3, 31, v0
	s_delay_alu instid0(VALU_DEP_2) | instskip(NEXT) | instid1(VALU_DEP_1)
	v_mul_hi_u32 v1, v4, v1
	v_add_nc_u32_e32 v7, 1, v1
	v_add_nc_u32_e32 v2, v2, v5
	v_mul_lo_u32 v5, v1, s45
	s_delay_alu instid0(VALU_DEP_1) | instskip(NEXT) | instid1(VALU_DEP_1)
	v_sub_nc_u32_e32 v5, v4, v5
	v_cmp_le_u32_e32 vcc_lo, s45, v5
	v_cndmask_b32_e32 v1, v1, v7, vcc_lo
	v_mul_hi_u32 v2, v3, v2
	v_subrev_nc_u32_e32 v7, s45, v5
	s_delay_alu instid0(VALU_DEP_1) | instskip(NEXT) | instid1(VALU_DEP_4)
	v_cndmask_b32_e32 v5, v5, v7, vcc_lo
	v_add_nc_u32_e32 v7, 1, v1
	s_delay_alu instid0(VALU_DEP_4) | instskip(SKIP_1) | instid1(VALU_DEP_4)
	v_mul_lo_u32 v6, v2, s1
	v_add_nc_u32_e32 v8, 1, v2
	v_cmp_le_u32_e32 vcc_lo, s45, v5
	v_mov_b32_e32 v5, 0
	s_delay_alu instid0(VALU_DEP_4) | instskip(SKIP_1) | instid1(VALU_DEP_2)
	v_sub_nc_u32_e32 v6, v3, v6
	v_cndmask_b32_e32 v1, v1, v7, vcc_lo
	v_subrev_nc_u32_e32 v9, s1, v6
	v_cmp_le_u32_e64 s0, s1, v6
	s_delay_alu instid0(VALU_DEP_3) | instskip(NEXT) | instid1(VALU_DEP_2)
	v_xor_b32_e32 v1, s44, v1
	v_cndmask_b32_e64 v2, v2, v8, s0
	s_delay_alu instid0(VALU_DEP_4) | instskip(SKIP_1) | instid1(VALU_DEP_2)
	v_cndmask_b32_e64 v6, v6, v9, s0
	s_ashr_i32 s0, s23, 31
	v_add_nc_u32_e32 v8, 1, v2
	s_delay_alu instid0(VALU_DEP_2) | instskip(SKIP_2) | instid1(SALU_CYCLE_1)
	v_cmp_le_u32_e32 vcc_lo, s1, v6
	v_subrev_nc_u32_e32 v6, s44, v1
	s_mul_i32 s1, s5, s42
	s_sub_i32 s29, s1, s29
	v_cndmask_b32_e32 v2, v2, v8, vcc_lo
	s_delay_alu instid0(VALU_DEP_2) | instskip(SKIP_1) | instid1(VALU_DEP_3)
	v_mul_lo_u32 v1, v6, s21
	v_dual_mov_b32 v8, 0 :: v_dual_lshlrev_b32 v9, 2, v3
	v_xor_b32_e32 v2, s0, v2
	s_delay_alu instid0(VALU_DEP_3) | instskip(NEXT) | instid1(VALU_DEP_2)
	v_sub_nc_u32_e32 v10, v4, v1
	v_subrev_nc_u32_e32 v7, s0, v2
	s_mul_i32 s0, s3, s43
	s_delay_alu instid0(SALU_CYCLE_1) | instskip(NEXT) | instid1(VALU_DEP_1)
	s_sub_i32 s30, s0, s30
	v_mul_lo_u32 v2, v7, s23
	v_cmp_gt_i32_e32 vcc_lo, s22, v7
	s_delay_alu instid0(VALU_DEP_2)
	v_sub_nc_u32_e32 v11, v3, v2
	s_branch .LBB35_6
.LBB35_3:                               ;   in Loop: Header=BB35_6 Depth=1
	s_or_b32 exec_lo, exec_lo, s39
.LBB35_4:                               ;   in Loop: Header=BB35_6 Depth=1
	s_delay_alu instid0(SALU_CYCLE_1)
	s_or_b32 exec_lo, exec_lo, s38
.LBB35_5:                               ;   in Loop: Header=BB35_6 Depth=1
	s_delay_alu instid0(SALU_CYCLE_1) | instskip(SKIP_2) | instid1(VALU_DEP_2)
	s_or_b32 exec_lo, exec_lo, s31
	v_add_nc_u32_e32 v4, s37, v4
	v_add_nc_u32_e32 v10, s37, v10
	v_cmp_le_i32_e64 s0, s20, v4
	s_delay_alu instid0(VALU_DEP_1) | instskip(NEXT) | instid1(SALU_CYCLE_1)
	s_or_b32 s28, s0, s28
	s_and_not1_b32 exec_lo, exec_lo, s28
	s_cbranch_execz .LBB35_22
.LBB35_6:                               ; =>This Loop Header: Depth=1
                                        ;     Child Loop BB35_8 Depth 2
                                        ;     Child Loop BB35_14 Depth 2
                                        ;       Child Loop BB35_20 Depth 3
	s_mov_b32 s1, exec_lo
	v_cmpx_le_i32_e64 s21, v10
	s_cbranch_execz .LBB35_10
; %bb.7:                                ;   in Loop: Header=BB35_6 Depth=1
	s_mov_b32 s2, 0
.LBB35_8:                               ;   Parent Loop BB35_6 Depth=1
                                        ; =>  This Inner Loop Header: Depth=2
	v_subrev_nc_u32_e32 v10, s21, v10
	v_add_nc_u32_e32 v6, 1, v6
	s_delay_alu instid0(VALU_DEP_2) | instskip(NEXT) | instid1(VALU_DEP_1)
	v_cmp_gt_i32_e64 s0, s21, v10
	s_or_b32 s2, s0, s2
	s_delay_alu instid0(SALU_CYCLE_1)
	s_and_not1_b32 exec_lo, exec_lo, s2
	s_cbranch_execnz .LBB35_8
; %bb.9:                                ;   in Loop: Header=BB35_6 Depth=1
	s_or_b32 exec_lo, exec_lo, s2
.LBB35_10:                              ;   in Loop: Header=BB35_6 Depth=1
	s_delay_alu instid0(SALU_CYCLE_1) | instskip(SKIP_1) | instid1(VALU_DEP_1)
	s_or_b32 exec_lo, exec_lo, s1
	v_mad_u64_u32 v[1:2], null, v10, s11, s[4:5]
	v_cmp_lt_i32_e64 s0, -1, v1
	v_cmp_gt_i32_e64 s1, s17, v1
	s_delay_alu instid0(VALU_DEP_1) | instskip(NEXT) | instid1(SALU_CYCLE_1)
	s_and_b32 s0, s0, s1
	s_and_saveexec_b32 s31, s0
	s_cbranch_execz .LBB35_5
; %bb.11:                               ;   in Loop: Header=BB35_6 Depth=1
	s_and_saveexec_b32 s38, vcc_lo
	s_cbranch_execz .LBB35_4
; %bb.12:                               ;   in Loop: Header=BB35_6 Depth=1
	v_mul_lo_u32 v2, s12, v6
	v_mul_lo_u32 v12, s24, v6
	;; [unrolled: 1-line block ×4, first 2 shown]
	s_mov_b32 s39, 0
	s_delay_alu instid0(VALU_DEP_4) | instskip(NEXT) | instid1(VALU_DEP_4)
	v_ashrrev_i32_e32 v3, 31, v2
	v_ashrrev_i32_e32 v13, 31, v12
	s_delay_alu instid0(VALU_DEP_4) | instskip(NEXT) | instid1(VALU_DEP_4)
	v_ashrrev_i32_e32 v17, 31, v16
	v_ashrrev_i32_e32 v15, 31, v14
	s_delay_alu instid0(VALU_DEP_4) | instskip(NEXT) | instid1(VALU_DEP_4)
	v_lshlrev_b64 v[1:2], 2, v[2:3]
	v_lshlrev_b64 v[12:13], 2, v[12:13]
	s_delay_alu instid0(VALU_DEP_4) | instskip(NEXT) | instid1(VALU_DEP_4)
	v_lshlrev_b64 v[16:17], 2, v[16:17]
	v_lshlrev_b64 v[14:15], 2, v[14:15]
	s_delay_alu instid0(VALU_DEP_4) | instskip(NEXT) | instid1(VALU_DEP_1)
	v_add_co_u32 v1, s0, s13, v1
	v_add_co_ci_u32_e64 v2, s0, s15, v2, s0
	v_add_co_u32 v3, s0, s25, v12
	s_delay_alu instid0(VALU_DEP_1) | instskip(NEXT) | instid1(VALU_DEP_4)
	v_add_co_ci_u32_e64 v13, s0, s27, v13, s0
	v_add_co_u32 v1, s0, v1, v16
	s_delay_alu instid0(VALU_DEP_1) | instskip(NEXT) | instid1(VALU_DEP_4)
	;; [unrolled: 3-line block ×3, first 2 shown]
	v_add_co_ci_u32_e64 v13, s0, v13, v15, s0
	v_add_co_u32 v1, s0, v1, v9
	s_delay_alu instid0(VALU_DEP_1)
	v_add_co_ci_u32_e64 v2, s0, 0, v2, s0
	v_mov_b32_e32 v14, v11
	v_mov_b32_e32 v15, v7
	s_branch .LBB35_14
.LBB35_13:                              ;   in Loop: Header=BB35_14 Depth=2
	s_or_b32 exec_lo, exec_lo, s1
	v_cmp_le_i32_e64 s0, s22, v15
	v_add_co_u32 v1, s1, 0x80, v1
	s_delay_alu instid0(VALU_DEP_1) | instskip(SKIP_3) | instid1(SALU_CYCLE_1)
	v_add_co_ci_u32_e64 v2, s1, 0, v2, s1
	s_waitcnt vmcnt(0)
	v_fmac_f32_e32 v5, v16, v17
	s_or_b32 s39, s0, s39
	s_and_not1_b32 exec_lo, exec_lo, s39
	s_cbranch_execz .LBB35_3
.LBB35_14:                              ;   Parent Loop BB35_6 Depth=1
                                        ; =>  This Loop Header: Depth=2
                                        ;       Child Loop BB35_20 Depth 3
	global_load_b32 v16, v[1:2], off
	v_add_nc_u32_e32 v3, s30, v14
	v_mov_b32_e32 v17, 0
	s_mov_b32 s40, exec_lo
	s_delay_alu instid0(VALU_DEP_2)
	v_cmpx_lt_i32_e32 -1, v3
	s_cbranch_execz .LBB35_18
; %bb.15:                               ;   in Loop: Header=BB35_14 Depth=2
	v_dual_mov_b32 v17, 0 :: v_dual_add_nc_u32 v18, s29, v15
	v_cmp_gt_i32_e64 s0, s19, v3
	s_delay_alu instid0(VALU_DEP_2) | instskip(SKIP_1) | instid1(VALU_DEP_2)
	v_cmp_gt_i32_e64 s1, s18, v18
	v_cmp_lt_i32_e64 s2, -1, v18
	s_and_b32 s0, s0, s1
	s_delay_alu instid0(VALU_DEP_1) | instid1(SALU_CYCLE_1)
	s_and_b32 s0, s0, s2
	s_delay_alu instid0(SALU_CYCLE_1)
	s_and_saveexec_b32 s1, s0
	s_cbranch_execz .LBB35_17
; %bb.16:                               ;   in Loop: Header=BB35_14 Depth=2
	v_mad_u64_u32 v[19:20], null, v18, s19, v[3:4]
	v_mov_b32_e32 v20, v8
	s_delay_alu instid0(VALU_DEP_1) | instskip(NEXT) | instid1(VALU_DEP_1)
	v_lshlrev_b64 v[17:18], 2, v[19:20]
	v_add_co_u32 v17, s0, v12, v17
	s_delay_alu instid0(VALU_DEP_1)
	v_add_co_ci_u32_e64 v18, s0, v13, v18, s0
	global_load_b32 v17, v[17:18], off
.LBB35_17:                              ;   in Loop: Header=BB35_14 Depth=2
	s_or_b32 exec_lo, exec_lo, s1
.LBB35_18:                              ;   in Loop: Header=BB35_14 Depth=2
	s_delay_alu instid0(SALU_CYCLE_1) | instskip(SKIP_2) | instid1(VALU_DEP_1)
	s_or_b32 exec_lo, exec_lo, s40
	v_add_nc_u32_e32 v14, 32, v14
	s_mov_b32 s1, exec_lo
	v_cmpx_le_i32_e64 s23, v14
	s_cbranch_execz .LBB35_13
; %bb.19:                               ;   in Loop: Header=BB35_14 Depth=2
	s_mov_b32 s2, 0
.LBB35_20:                              ;   Parent Loop BB35_6 Depth=1
                                        ;     Parent Loop BB35_14 Depth=2
                                        ; =>    This Inner Loop Header: Depth=3
	v_subrev_nc_u32_e32 v14, s23, v14
	v_add_nc_u32_e32 v15, 1, v15
	s_delay_alu instid0(VALU_DEP_2) | instskip(NEXT) | instid1(VALU_DEP_1)
	v_cmp_gt_i32_e64 s0, s23, v14
	s_or_b32 s2, s0, s2
	s_delay_alu instid0(SALU_CYCLE_1)
	s_and_not1_b32 exec_lo, exec_lo, s2
	s_cbranch_execnz .LBB35_20
; %bb.21:                               ;   in Loop: Header=BB35_14 Depth=2
	s_or_b32 exec_lo, exec_lo, s2
	s_branch .LBB35_13
.LBB35_22:
	s_or_b32 exec_lo, exec_lo, s28
.LBB35_23:
	s_delay_alu instid0(SALU_CYCLE_1) | instskip(SKIP_2) | instid1(SALU_CYCLE_1)
	s_or_b32 exec_lo, exec_lo, s36
	v_lshl_add_u32 v1, v0, 2, 0
	s_bcnt1_i32_b32 s0, s16
	s_cmp_lg_u32 s0, 1
	s_mov_b32 s0, -1
	ds_store_b32 v1, v5
	s_waitcnt lgkmcnt(0)
	s_barrier
	buffer_gl0_inv
	s_cbranch_scc1 .LBB35_32
; %bb.24:
	s_and_not1_b32 vcc_lo, exec_lo, s0
	s_cbranch_vccnz .LBB35_28
.LBB35_25:
	s_cmp_lt_u32 s16, 2
	s_cbranch_scc0 .LBB35_30
.LBB35_26:
	s_mov_b32 s0, exec_lo
	v_cmpx_eq_u32_e32 0, v0
	s_cbranch_execz .LBB35_28
; %bb.27:
	s_mul_i32 s0, s7, s33
	v_mov_b32_e32 v0, 0
	s_ashr_i32 s1, s0, 31
	s_mul_i32 s6, s8, s6
	s_lshl_b64 s[0:1], s[0:1], 2
	s_mul_i32 s4, s9, s5
	ds_load_b32 v1, v0
	s_add_u32 s2, s34, s0
	s_addc_u32 s8, s35, s1
	s_ashr_i32 s7, s6, 31
	s_delay_alu instid0(SALU_CYCLE_1) | instskip(NEXT) | instid1(SALU_CYCLE_1)
	s_lshl_b64 s[0:1], s[6:7], 2
	s_add_u32 s2, s2, s0
	s_addc_u32 s6, s8, s1
	s_ashr_i32 s5, s4, 31
	s_delay_alu instid0(SALU_CYCLE_1) | instskip(NEXT) | instid1(SALU_CYCLE_1)
	s_lshl_b64 s[0:1], s[4:5], 2
	s_add_u32 s2, s2, s0
	s_mul_i32 s0, s10, s3
	s_addc_u32 s3, s6, s1
	s_ashr_i32 s1, s0, 31
	s_delay_alu instid0(SALU_CYCLE_1) | instskip(NEXT) | instid1(SALU_CYCLE_1)
	s_lshl_b64 s[0:1], s[0:1], 2
	s_add_u32 s0, s2, s0
	s_addc_u32 s1, s3, s1
	s_waitcnt lgkmcnt(0)
	global_store_b32 v0, v1, s[0:1]
.LBB35_28:
	s_nop 0
	s_sendmsg sendmsg(MSG_DEALLOC_VGPRS)
	s_endpgm
	.p2align	6
.LBB35_29:                              ;   in Loop: Header=BB35_30 Depth=1
	s_or_b32 exec_lo, exec_lo, s1
	s_cmp_lt_u32 s16, 4
	s_mov_b32 s16, s0
	s_waitcnt lgkmcnt(0)
	s_barrier
	buffer_gl0_inv
	s_cbranch_scc1 .LBB35_26
.LBB35_30:                              ; =>This Inner Loop Header: Depth=1
	s_lshr_b32 s0, s16, 1
	s_mov_b32 s1, exec_lo
	v_cmpx_gt_u32_e64 s0, v0
	s_cbranch_execz .LBB35_29
; %bb.31:                               ;   in Loop: Header=BB35_30 Depth=1
	v_lshl_add_u32 v2, s0, 2, v1
	ds_load_b32 v2, v2
	ds_load_b32 v3, v1
	s_waitcnt lgkmcnt(0)
	v_add_f32_e32 v2, v2, v3
	ds_store_b32 v1, v2
	s_branch .LBB35_29
.LBB35_32:
	s_cbranch_execnz .LBB35_34
; %bb.33:
	; divergent unreachable
	s_cbranch_execz .LBB35_25
	s_branch .LBB35_28
.LBB35_34:
	s_trap 2
	s_sendmsg_rtn_b32 s0, sendmsg(MSG_RTN_GET_DOORBELL)
	s_mov_b32 ttmp2, m0
	s_waitcnt lgkmcnt(0)
	s_and_b32 s0, s0, 0x3ff
	s_delay_alu instid0(SALU_CYCLE_1) | instskip(NEXT) | instid1(SALU_CYCLE_1)
	s_bitset1_b32 s0, 10
	s_mov_b32 m0, s0
	s_sendmsg sendmsg(MSG_INTERRUPT)
	s_mov_b32 m0, ttmp2
.LBB35_35:                              ; =>This Inner Loop Header: Depth=1
	s_sethalt 5
	s_branch .LBB35_35
	.section	.rodata,"a",@progbits
	.p2align	6, 0x0
	.amdhsa_kernel _ZN2at6native12_GLOBAL__N_144conv_depthwise3d_cuda_backward_weight_kernelIffLi1ELi1EEEvN5torch10headeronly6detail27GenericPackedTensorAccessorINS5_14TensorAccessorIN3c108ArrayRefIlEEKT_Lm4ENS4_16DefaultPtrTraitsEiEENS_6detail16IndexBoundsCheckILm5EiEESC_Lm5ESD_iEESI_NS6_INS7_ISA_SB_Lm4ESD_iEESH_SB_Lm5ESD_iEEiiiiiiiii
		.amdhsa_group_segment_fixed_size 0
		.amdhsa_private_segment_fixed_size 0
		.amdhsa_kernarg_size 440
		.amdhsa_user_sgpr_count 15
		.amdhsa_user_sgpr_dispatch_ptr 0
		.amdhsa_user_sgpr_queue_ptr 0
		.amdhsa_user_sgpr_kernarg_segment_ptr 1
		.amdhsa_user_sgpr_dispatch_id 0
		.amdhsa_user_sgpr_private_segment_size 0
		.amdhsa_wavefront_size32 1
		.amdhsa_uses_dynamic_stack 0
		.amdhsa_enable_private_segment 0
		.amdhsa_system_sgpr_workgroup_id_x 1
		.amdhsa_system_sgpr_workgroup_id_y 0
		.amdhsa_system_sgpr_workgroup_id_z 0
		.amdhsa_system_sgpr_workgroup_info 0
		.amdhsa_system_vgpr_workitem_id 0
		.amdhsa_next_free_vgpr 21
		.amdhsa_next_free_sgpr 47
		.amdhsa_reserve_vcc 1
		.amdhsa_float_round_mode_32 0
		.amdhsa_float_round_mode_16_64 0
		.amdhsa_float_denorm_mode_32 3
		.amdhsa_float_denorm_mode_16_64 3
		.amdhsa_dx10_clamp 1
		.amdhsa_ieee_mode 1
		.amdhsa_fp16_overflow 0
		.amdhsa_workgroup_processor_mode 1
		.amdhsa_memory_ordered 1
		.amdhsa_forward_progress 0
		.amdhsa_shared_vgpr_count 0
		.amdhsa_exception_fp_ieee_invalid_op 0
		.amdhsa_exception_fp_denorm_src 0
		.amdhsa_exception_fp_ieee_div_zero 0
		.amdhsa_exception_fp_ieee_overflow 0
		.amdhsa_exception_fp_ieee_underflow 0
		.amdhsa_exception_fp_ieee_inexact 0
		.amdhsa_exception_int_div_zero 0
	.end_amdhsa_kernel
	.section	.text._ZN2at6native12_GLOBAL__N_144conv_depthwise3d_cuda_backward_weight_kernelIffLi1ELi1EEEvN5torch10headeronly6detail27GenericPackedTensorAccessorINS5_14TensorAccessorIN3c108ArrayRefIlEEKT_Lm4ENS4_16DefaultPtrTraitsEiEENS_6detail16IndexBoundsCheckILm5EiEESC_Lm5ESD_iEESI_NS6_INS7_ISA_SB_Lm4ESD_iEESH_SB_Lm5ESD_iEEiiiiiiiii,"axG",@progbits,_ZN2at6native12_GLOBAL__N_144conv_depthwise3d_cuda_backward_weight_kernelIffLi1ELi1EEEvN5torch10headeronly6detail27GenericPackedTensorAccessorINS5_14TensorAccessorIN3c108ArrayRefIlEEKT_Lm4ENS4_16DefaultPtrTraitsEiEENS_6detail16IndexBoundsCheckILm5EiEESC_Lm5ESD_iEESI_NS6_INS7_ISA_SB_Lm4ESD_iEESH_SB_Lm5ESD_iEEiiiiiiiii,comdat
.Lfunc_end35:
	.size	_ZN2at6native12_GLOBAL__N_144conv_depthwise3d_cuda_backward_weight_kernelIffLi1ELi1EEEvN5torch10headeronly6detail27GenericPackedTensorAccessorINS5_14TensorAccessorIN3c108ArrayRefIlEEKT_Lm4ENS4_16DefaultPtrTraitsEiEENS_6detail16IndexBoundsCheckILm5EiEESC_Lm5ESD_iEESI_NS6_INS7_ISA_SB_Lm4ESD_iEESH_SB_Lm5ESD_iEEiiiiiiiii, .Lfunc_end35-_ZN2at6native12_GLOBAL__N_144conv_depthwise3d_cuda_backward_weight_kernelIffLi1ELi1EEEvN5torch10headeronly6detail27GenericPackedTensorAccessorINS5_14TensorAccessorIN3c108ArrayRefIlEEKT_Lm4ENS4_16DefaultPtrTraitsEiEENS_6detail16IndexBoundsCheckILm5EiEESC_Lm5ESD_iEESI_NS6_INS7_ISA_SB_Lm4ESD_iEESH_SB_Lm5ESD_iEEiiiiiiiii
                                        ; -- End function
	.section	.AMDGPU.csdata,"",@progbits
; Kernel info:
; codeLenInByte = 2252
; NumSgprs: 49
; NumVgprs: 21
; ScratchSize: 0
; MemoryBound: 0
; FloatMode: 240
; IeeeMode: 1
; LDSByteSize: 0 bytes/workgroup (compile time only)
; SGPRBlocks: 6
; VGPRBlocks: 2
; NumSGPRsForWavesPerEU: 49
; NumVGPRsForWavesPerEU: 21
; Occupancy: 16
; WaveLimiterHint : 1
; COMPUTE_PGM_RSRC2:SCRATCH_EN: 0
; COMPUTE_PGM_RSRC2:USER_SGPR: 15
; COMPUTE_PGM_RSRC2:TRAP_HANDLER: 0
; COMPUTE_PGM_RSRC2:TGID_X_EN: 1
; COMPUTE_PGM_RSRC2:TGID_Y_EN: 0
; COMPUTE_PGM_RSRC2:TGID_Z_EN: 0
; COMPUTE_PGM_RSRC2:TIDIG_COMP_CNT: 0
	.section	.text._ZN2at6native12_GLOBAL__N_144conv_depthwise3d_cuda_backward_weight_kernelIffLi2ELi2EEEvN5torch10headeronly6detail27GenericPackedTensorAccessorINS5_14TensorAccessorIN3c108ArrayRefIlEEKT_Lm4ENS4_16DefaultPtrTraitsEiEENS_6detail16IndexBoundsCheckILm5EiEESC_Lm5ESD_iEESI_NS6_INS7_ISA_SB_Lm4ESD_iEESH_SB_Lm5ESD_iEEiiiiiiiii,"axG",@progbits,_ZN2at6native12_GLOBAL__N_144conv_depthwise3d_cuda_backward_weight_kernelIffLi2ELi2EEEvN5torch10headeronly6detail27GenericPackedTensorAccessorINS5_14TensorAccessorIN3c108ArrayRefIlEEKT_Lm4ENS4_16DefaultPtrTraitsEiEENS_6detail16IndexBoundsCheckILm5EiEESC_Lm5ESD_iEESI_NS6_INS7_ISA_SB_Lm4ESD_iEESH_SB_Lm5ESD_iEEiiiiiiiii,comdat
	.globl	_ZN2at6native12_GLOBAL__N_144conv_depthwise3d_cuda_backward_weight_kernelIffLi2ELi2EEEvN5torch10headeronly6detail27GenericPackedTensorAccessorINS5_14TensorAccessorIN3c108ArrayRefIlEEKT_Lm4ENS4_16DefaultPtrTraitsEiEENS_6detail16IndexBoundsCheckILm5EiEESC_Lm5ESD_iEESI_NS6_INS7_ISA_SB_Lm4ESD_iEESH_SB_Lm5ESD_iEEiiiiiiiii ; -- Begin function _ZN2at6native12_GLOBAL__N_144conv_depthwise3d_cuda_backward_weight_kernelIffLi2ELi2EEEvN5torch10headeronly6detail27GenericPackedTensorAccessorINS5_14TensorAccessorIN3c108ArrayRefIlEEKT_Lm4ENS4_16DefaultPtrTraitsEiEENS_6detail16IndexBoundsCheckILm5EiEESC_Lm5ESD_iEESI_NS6_INS7_ISA_SB_Lm4ESD_iEESH_SB_Lm5ESD_iEEiiiiiiiii
	.p2align	8
	.type	_ZN2at6native12_GLOBAL__N_144conv_depthwise3d_cuda_backward_weight_kernelIffLi2ELi2EEEvN5torch10headeronly6detail27GenericPackedTensorAccessorINS5_14TensorAccessorIN3c108ArrayRefIlEEKT_Lm4ENS4_16DefaultPtrTraitsEiEENS_6detail16IndexBoundsCheckILm5EiEESC_Lm5ESD_iEESI_NS6_INS7_ISA_SB_Lm4ESD_iEESH_SB_Lm5ESD_iEEiiiiiiiii,@function
_ZN2at6native12_GLOBAL__N_144conv_depthwise3d_cuda_backward_weight_kernelIffLi2ELi2EEEvN5torch10headeronly6detail27GenericPackedTensorAccessorINS5_14TensorAccessorIN3c108ArrayRefIlEEKT_Lm4ENS4_16DefaultPtrTraitsEiEENS_6detail16IndexBoundsCheckILm5EiEESC_Lm5ESD_iEESI_NS6_INS7_ISA_SB_Lm4ESD_iEESH_SB_Lm5ESD_iEEiiiiiiiii: ; @_ZN2at6native12_GLOBAL__N_144conv_depthwise3d_cuda_backward_weight_kernelIffLi2ELi2EEEvN5torch10headeronly6detail27GenericPackedTensorAccessorINS5_14TensorAccessorIN3c108ArrayRefIlEEKT_Lm4ENS4_16DefaultPtrTraitsEiEENS_6detail16IndexBoundsCheckILm5EiEESC_Lm5ESD_iEESI_NS6_INS7_ISA_SB_Lm4ESD_iEESH_SB_Lm5ESD_iEEiiiiiiiii
; %bb.0:
	s_load_b128 s[4:7], s[0:1], 0x70
	s_add_u32 s2, s0, 0x60
	s_addc_u32 s3, s1, 0
	s_clause 0x1
	s_load_b128 s[16:19], s[0:1], 0x3c
	s_load_b128 s[20:23], s[0:1], 0xc
	s_waitcnt lgkmcnt(0)
	v_cvt_f32_u32_e32 v1, s6
	v_cvt_f32_u32_e32 v2, s5
	s_sub_i32 s9, 0, s6
	s_delay_alu instid0(VALU_DEP_2) | instskip(NEXT) | instid1(VALU_DEP_1)
	v_rcp_iflag_f32_e32 v1, v1
	v_rcp_iflag_f32_e32 v2, v2
	s_waitcnt_depctr 0xfff
	v_dual_mul_f32 v1, 0x4f7ffffe, v1 :: v_dual_mul_f32 v2, 0x4f7ffffe, v2
	s_delay_alu instid0(VALU_DEP_1) | instskip(NEXT) | instid1(VALU_DEP_2)
	v_cvt_u32_f32_e32 v1, v1
	v_cvt_u32_f32_e32 v2, v2
	s_delay_alu instid0(VALU_DEP_2) | instskip(SKIP_1) | instid1(VALU_DEP_3)
	v_readfirstlane_b32 s8, v1
	v_cvt_f32_u32_e32 v1, s4
	v_readfirstlane_b32 s13, v2
	s_delay_alu instid0(VALU_DEP_3) | instskip(NEXT) | instid1(VALU_DEP_2)
	s_mul_i32 s9, s9, s8
	v_rcp_iflag_f32_e32 v1, v1
	s_mul_hi_u32 s9, s8, s9
	s_delay_alu instid0(SALU_CYCLE_1) | instskip(NEXT) | instid1(SALU_CYCLE_1)
	s_add_i32 s8, s8, s9
	s_mul_hi_u32 s8, s15, s8
	s_delay_alu instid0(SALU_CYCLE_1)
	s_mul_i32 s9, s8, s6
	s_add_i32 s10, s8, 1
	s_sub_i32 s9, s15, s9
	s_waitcnt_depctr 0xfff
	v_mul_f32_e32 v1, 0x4f7ffffe, v1
	s_sub_i32 s11, s9, s6
	s_cmp_ge_u32 s9, s6
	s_cselect_b32 s8, s10, s8
	s_cselect_b32 s9, s11, s9
	s_add_i32 s10, s8, 1
	s_cmp_ge_u32 s9, s6
	v_cvt_u32_f32_e32 v1, v1
	s_cselect_b32 s12, s10, s8
	s_sub_i32 s8, 0, s5
	s_delay_alu instid0(SALU_CYCLE_1) | instskip(NEXT) | instid1(VALU_DEP_1)
	s_mul_i32 s8, s8, s13
	v_readfirstlane_b32 s14, v1
	s_mul_hi_u32 s8, s13, s8
	s_delay_alu instid0(SALU_CYCLE_1) | instskip(NEXT) | instid1(SALU_CYCLE_1)
	s_add_i32 s13, s13, s8
	s_mul_hi_u32 s8, s12, s13
	s_delay_alu instid0(SALU_CYCLE_1) | instskip(SKIP_2) | instid1(SALU_CYCLE_1)
	s_mul_i32 s9, s8, s5
	s_add_i32 s10, s8, 1
	s_sub_i32 s9, s12, s9
	s_sub_i32 s11, s9, s5
	s_cmp_ge_u32 s9, s5
	s_cselect_b32 s8, s10, s8
	s_cselect_b32 s9, s11, s9
	s_add_i32 s10, s8, 1
	s_cmp_ge_u32 s9, s5
	s_cselect_b32 s13, s10, s8
	s_sub_i32 s8, 0, s4
	s_delay_alu instid0(SALU_CYCLE_1) | instskip(NEXT) | instid1(SALU_CYCLE_1)
	s_mul_i32 s8, s8, s14
	s_mul_hi_u32 s8, s14, s8
	s_delay_alu instid0(SALU_CYCLE_1) | instskip(NEXT) | instid1(SALU_CYCLE_1)
	s_add_i32 s14, s14, s8
	s_mul_hi_u32 s8, s13, s14
	s_delay_alu instid0(SALU_CYCLE_1) | instskip(SKIP_2) | instid1(SALU_CYCLE_1)
	s_mul_i32 s9, s8, s4
	s_add_i32 s10, s8, 1
	s_sub_i32 s9, s13, s9
	s_sub_i32 s11, s9, s4
	s_cmp_ge_u32 s9, s4
	s_cselect_b32 s8, s10, s8
	s_cselect_b32 s9, s11, s9
	s_add_i32 s10, s8, 1
	s_cmp_ge_u32 s9, s4
	s_cselect_b32 s33, s10, s8
	s_abs_i32 s8, s16
	s_abs_i32 s11, s20
	v_cvt_f32_u32_e32 v1, s8
	s_sub_i32 s10, 0, s8
	s_delay_alu instid0(VALU_DEP_1) | instskip(SKIP_2) | instid1(VALU_DEP_1)
	v_rcp_iflag_f32_e32 v1, v1
	s_waitcnt_depctr 0xfff
	v_mul_f32_e32 v1, 0x4f7ffffe, v1
	v_cvt_u32_f32_e32 v1, v1
	s_delay_alu instid0(VALU_DEP_1) | instskip(NEXT) | instid1(VALU_DEP_1)
	v_readfirstlane_b32 s9, v1
	s_mul_i32 s10, s10, s9
	s_delay_alu instid0(SALU_CYCLE_1) | instskip(NEXT) | instid1(SALU_CYCLE_1)
	s_mul_hi_u32 s10, s9, s10
	s_add_i32 s9, s9, s10
	s_xor_b32 s10, s20, s16
	s_mul_hi_u32 s9, s11, s9
	s_ashr_i32 s10, s10, 31
	s_mul_i32 s14, s9, s8
	s_delay_alu instid0(SALU_CYCLE_1)
	s_sub_i32 s11, s11, s14
	s_add_i32 s14, s9, 1
	s_sub_i32 s16, s11, s8
	s_cmp_ge_u32 s11, s8
	s_cselect_b32 s9, s14, s9
	s_cselect_b32 s11, s16, s11
	s_add_i32 s14, s9, 1
	s_cmp_ge_u32 s11, s8
	s_cselect_b32 s8, s14, s9
	s_delay_alu instid0(SALU_CYCLE_1) | instskip(NEXT) | instid1(SALU_CYCLE_1)
	s_xor_b32 s8, s8, s10
	s_sub_i32 s14, s8, s10
	s_load_b32 s8, s[0:1], 0x68
	s_abs_i32 s38, s14
	s_delay_alu instid0(SALU_CYCLE_1) | instskip(NEXT) | instid1(VALU_DEP_1)
	v_cvt_f32_u32_e32 v1, s38
	v_rcp_iflag_f32_e32 v1, v1
	s_waitcnt_depctr 0xfff
	v_mul_f32_e32 v1, 0x4f7ffffe, v1
	s_waitcnt lgkmcnt(0)
	s_cmp_ge_i32 s33, s8
	s_delay_alu instid0(VALU_DEP_1) | instskip(NEXT) | instid1(VALU_DEP_1)
	v_cvt_u32_f32_e32 v1, v1
	v_readfirstlane_b32 s24, v1
	s_cbranch_scc1 .LBB36_28
; %bb.1:
	s_clause 0x1
	s_load_b32 s20, s[0:1], 0x38
	s_load_b32 s16, s[0:1], 0xc4
	s_clause 0x1
	s_load_b64 s[34:35], s[2:3], 0x0
	s_load_b128 s[8:11], s[2:3], 0x24
	v_lshrrev_b32_e32 v4, 5, v0
	v_mov_b32_e32 v5, 0
	s_mul_i32 s2, s12, s6
	s_mul_i32 s5, s13, s5
	;; [unrolled: 1-line block ×3, first 2 shown]
	s_sub_i32 s3, s15, s2
	s_sub_i32 s5, s12, s5
	;; [unrolled: 1-line block ×3, first 2 shown]
	s_mov_b32 s36, exec_lo
	s_waitcnt lgkmcnt(0)
	s_mul_i32 s20, s20, s21
	s_and_b32 s16, s16, 0xffff
	v_cmpx_gt_i32_e64 s20, v4
	s_cbranch_execz .LBB36_23
; %bb.2:
	s_sub_i32 s2, 0, s38
	s_abs_i32 s26, s33
	s_mul_i32 s2, s2, s24
	s_ashr_i32 s25, s14, 31
	s_mul_hi_u32 s2, s24, s2
	s_clause 0x2
	s_load_b128 s[28:31], s[0:1], 0x9c
	s_load_b64 s[40:41], s[0:1], 0x0
	s_load_b128 s[12:15], s[0:1], 0x1c
	s_add_i32 s24, s24, s2
	s_ashr_i32 s4, s33, 31
	s_mul_hi_u32 s2, s26, s24
	s_lshr_b32 s37, s16, 5
	s_waitcnt lgkmcnt(0)
	s_mul_i32 s15, s2, s38
	s_xor_b32 s4, s4, s25
	s_sub_i32 s15, s26, s15
	s_add_i32 s39, s2, 1
	s_sub_i32 s42, s15, s38
	s_load_b128 s[24:27], s[0:1], 0x4c
	s_cmp_ge_u32 s15, s38
	s_cselect_b32 s2, s39, s2
	s_cselect_b32 s15, s42, s15
	s_waitcnt lgkmcnt(0)
	s_add_i32 s27, s2, 1
	s_cmp_ge_u32 s15, s38
	s_clause 0x1
	s_load_b64 s[38:39], s[0:1], 0x30
	s_load_b64 s[42:43], s[0:1], 0xac
	s_cselect_b32 s2, s27, s2
	s_mul_i32 s0, s13, s33
	s_xor_b32 s2, s2, s4
	s_ashr_i32 s1, s0, 31
	s_sub_i32 s2, s2, s4
	s_abs_i32 s45, s21
	s_mul_i32 s4, s6, s31
	s_lshl_b64 s[0:1], s[0:1], 2
	s_ashr_i32 s44, s21, 31
	s_sub_i32 s46, 0, s45
	s_sub_i32 s4, s4, s28
	s_add_u32 s13, s40, s0
	s_mul_i32 s0, s25, s2
	s_addc_u32 s15, s41, s1
	s_ashr_i32 s1, s0, 31
	v_cvt_f32_u32_e32 v1, s45
	s_lshl_b64 s[0:1], s[0:1], 2
	s_mov_b32 s28, 0
	s_waitcnt lgkmcnt(0)
	s_add_u32 s25, s38, s0
	s_addc_u32 s27, s39, s1
	s_abs_i32 s1, s23
	v_rcp_iflag_f32_e32 v1, v1
	v_cvt_f32_u32_e32 v2, s1
	s_sub_i32 s0, 0, s1
	s_delay_alu instid0(VALU_DEP_1) | instskip(SKIP_2) | instid1(VALU_DEP_1)
	v_rcp_iflag_f32_e32 v2, v2
	s_waitcnt_depctr 0xfff
	v_dual_mul_f32 v1, 0x4f7ffffe, v1 :: v_dual_mul_f32 v2, 0x4f7ffffe, v2
	v_cvt_u32_f32_e32 v1, v1
	s_delay_alu instid0(VALU_DEP_2) | instskip(NEXT) | instid1(VALU_DEP_2)
	v_cvt_u32_f32_e32 v2, v2
	v_mul_lo_u32 v3, s46, v1
	s_delay_alu instid0(VALU_DEP_2) | instskip(NEXT) | instid1(VALU_DEP_2)
	v_mul_lo_u32 v5, s0, v2
	v_mul_hi_u32 v3, v1, v3
	s_delay_alu instid0(VALU_DEP_2) | instskip(NEXT) | instid1(VALU_DEP_2)
	v_mul_hi_u32 v5, v2, v5
	v_add_nc_u32_e32 v1, v1, v3
	v_and_b32_e32 v3, 31, v0
	s_delay_alu instid0(VALU_DEP_2) | instskip(NEXT) | instid1(VALU_DEP_1)
	v_mul_hi_u32 v1, v4, v1
	v_add_nc_u32_e32 v7, 1, v1
	v_add_nc_u32_e32 v2, v2, v5
	v_mul_lo_u32 v5, v1, s45
	s_delay_alu instid0(VALU_DEP_1) | instskip(NEXT) | instid1(VALU_DEP_1)
	v_sub_nc_u32_e32 v5, v4, v5
	v_cmp_le_u32_e32 vcc_lo, s45, v5
	v_cndmask_b32_e32 v1, v1, v7, vcc_lo
	v_mul_hi_u32 v2, v3, v2
	v_subrev_nc_u32_e32 v7, s45, v5
	s_delay_alu instid0(VALU_DEP_1) | instskip(NEXT) | instid1(VALU_DEP_4)
	v_cndmask_b32_e32 v5, v5, v7, vcc_lo
	v_add_nc_u32_e32 v7, 1, v1
	s_delay_alu instid0(VALU_DEP_4) | instskip(SKIP_1) | instid1(VALU_DEP_4)
	v_mul_lo_u32 v6, v2, s1
	v_add_nc_u32_e32 v8, 1, v2
	v_cmp_le_u32_e32 vcc_lo, s45, v5
	v_mov_b32_e32 v5, 0
	s_delay_alu instid0(VALU_DEP_4) | instskip(SKIP_1) | instid1(VALU_DEP_2)
	v_sub_nc_u32_e32 v6, v3, v6
	v_cndmask_b32_e32 v1, v1, v7, vcc_lo
	v_subrev_nc_u32_e32 v9, s1, v6
	v_cmp_le_u32_e64 s0, s1, v6
	s_delay_alu instid0(VALU_DEP_3) | instskip(NEXT) | instid1(VALU_DEP_2)
	v_xor_b32_e32 v1, s44, v1
	v_cndmask_b32_e64 v2, v2, v8, s0
	s_delay_alu instid0(VALU_DEP_4) | instskip(SKIP_1) | instid1(VALU_DEP_2)
	v_cndmask_b32_e64 v6, v6, v9, s0
	s_ashr_i32 s0, s23, 31
	v_add_nc_u32_e32 v8, 1, v2
	s_delay_alu instid0(VALU_DEP_2) | instskip(SKIP_2) | instid1(SALU_CYCLE_1)
	v_cmp_le_u32_e32 vcc_lo, s1, v6
	v_subrev_nc_u32_e32 v6, s44, v1
	s_mul_i32 s1, s5, s42
	s_sub_i32 s29, s1, s29
	v_cndmask_b32_e32 v2, v2, v8, vcc_lo
	s_delay_alu instid0(VALU_DEP_2) | instskip(SKIP_1) | instid1(VALU_DEP_3)
	v_mul_lo_u32 v1, v6, s21
	v_dual_mov_b32 v8, 0 :: v_dual_lshlrev_b32 v9, 2, v3
	v_xor_b32_e32 v2, s0, v2
	s_delay_alu instid0(VALU_DEP_3) | instskip(NEXT) | instid1(VALU_DEP_2)
	v_sub_nc_u32_e32 v10, v4, v1
	v_subrev_nc_u32_e32 v7, s0, v2
	s_mul_i32 s0, s3, s43
	s_delay_alu instid0(SALU_CYCLE_1) | instskip(NEXT) | instid1(VALU_DEP_1)
	s_sub_i32 s30, s0, s30
	v_mul_lo_u32 v2, v7, s23
	v_cmp_gt_i32_e32 vcc_lo, s22, v7
	s_delay_alu instid0(VALU_DEP_2)
	v_sub_nc_u32_e32 v11, v3, v2
	s_branch .LBB36_6
.LBB36_3:                               ;   in Loop: Header=BB36_6 Depth=1
	s_or_b32 exec_lo, exec_lo, s39
.LBB36_4:                               ;   in Loop: Header=BB36_6 Depth=1
	s_delay_alu instid0(SALU_CYCLE_1)
	s_or_b32 exec_lo, exec_lo, s38
.LBB36_5:                               ;   in Loop: Header=BB36_6 Depth=1
	s_delay_alu instid0(SALU_CYCLE_1) | instskip(SKIP_2) | instid1(VALU_DEP_2)
	s_or_b32 exec_lo, exec_lo, s31
	v_add_nc_u32_e32 v4, s37, v4
	v_add_nc_u32_e32 v10, s37, v10
	v_cmp_le_i32_e64 s0, s20, v4
	s_delay_alu instid0(VALU_DEP_1) | instskip(NEXT) | instid1(SALU_CYCLE_1)
	s_or_b32 s28, s0, s28
	s_and_not1_b32 exec_lo, exec_lo, s28
	s_cbranch_execz .LBB36_22
.LBB36_6:                               ; =>This Loop Header: Depth=1
                                        ;     Child Loop BB36_8 Depth 2
                                        ;     Child Loop BB36_14 Depth 2
                                        ;       Child Loop BB36_20 Depth 3
	s_mov_b32 s1, exec_lo
	v_cmpx_le_i32_e64 s21, v10
	s_cbranch_execz .LBB36_10
; %bb.7:                                ;   in Loop: Header=BB36_6 Depth=1
	s_mov_b32 s2, 0
.LBB36_8:                               ;   Parent Loop BB36_6 Depth=1
                                        ; =>  This Inner Loop Header: Depth=2
	v_subrev_nc_u32_e32 v10, s21, v10
	v_add_nc_u32_e32 v6, 1, v6
	s_delay_alu instid0(VALU_DEP_2) | instskip(NEXT) | instid1(VALU_DEP_1)
	v_cmp_gt_i32_e64 s0, s21, v10
	s_or_b32 s2, s0, s2
	s_delay_alu instid0(SALU_CYCLE_1)
	s_and_not1_b32 exec_lo, exec_lo, s2
	s_cbranch_execnz .LBB36_8
; %bb.9:                                ;   in Loop: Header=BB36_6 Depth=1
	s_or_b32 exec_lo, exec_lo, s2
.LBB36_10:                              ;   in Loop: Header=BB36_6 Depth=1
	s_delay_alu instid0(SALU_CYCLE_1) | instskip(SKIP_1) | instid1(VALU_DEP_1)
	s_or_b32 exec_lo, exec_lo, s1
	v_mad_u64_u32 v[1:2], null, v10, s11, s[4:5]
	v_cmp_lt_i32_e64 s0, -1, v1
	v_cmp_gt_i32_e64 s1, s17, v1
	s_delay_alu instid0(VALU_DEP_1) | instskip(NEXT) | instid1(SALU_CYCLE_1)
	s_and_b32 s0, s0, s1
	s_and_saveexec_b32 s31, s0
	s_cbranch_execz .LBB36_5
; %bb.11:                               ;   in Loop: Header=BB36_6 Depth=1
	s_and_saveexec_b32 s38, vcc_lo
	s_cbranch_execz .LBB36_4
; %bb.12:                               ;   in Loop: Header=BB36_6 Depth=1
	v_mul_lo_u32 v2, s12, v6
	v_mul_lo_u32 v12, s24, v6
	;; [unrolled: 1-line block ×4, first 2 shown]
	s_mov_b32 s39, 0
	s_delay_alu instid0(VALU_DEP_4) | instskip(NEXT) | instid1(VALU_DEP_4)
	v_ashrrev_i32_e32 v3, 31, v2
	v_ashrrev_i32_e32 v13, 31, v12
	s_delay_alu instid0(VALU_DEP_4) | instskip(NEXT) | instid1(VALU_DEP_4)
	v_ashrrev_i32_e32 v17, 31, v16
	v_ashrrev_i32_e32 v15, 31, v14
	s_delay_alu instid0(VALU_DEP_4) | instskip(NEXT) | instid1(VALU_DEP_4)
	v_lshlrev_b64 v[1:2], 2, v[2:3]
	v_lshlrev_b64 v[12:13], 2, v[12:13]
	s_delay_alu instid0(VALU_DEP_4) | instskip(NEXT) | instid1(VALU_DEP_4)
	v_lshlrev_b64 v[16:17], 2, v[16:17]
	v_lshlrev_b64 v[14:15], 2, v[14:15]
	s_delay_alu instid0(VALU_DEP_4) | instskip(NEXT) | instid1(VALU_DEP_1)
	v_add_co_u32 v1, s0, s13, v1
	v_add_co_ci_u32_e64 v2, s0, s15, v2, s0
	v_add_co_u32 v3, s0, s25, v12
	s_delay_alu instid0(VALU_DEP_1) | instskip(NEXT) | instid1(VALU_DEP_4)
	v_add_co_ci_u32_e64 v13, s0, s27, v13, s0
	v_add_co_u32 v1, s0, v1, v16
	s_delay_alu instid0(VALU_DEP_1) | instskip(NEXT) | instid1(VALU_DEP_4)
	;; [unrolled: 3-line block ×3, first 2 shown]
	v_add_co_ci_u32_e64 v13, s0, v13, v15, s0
	v_add_co_u32 v1, s0, v1, v9
	s_delay_alu instid0(VALU_DEP_1)
	v_add_co_ci_u32_e64 v2, s0, 0, v2, s0
	v_mov_b32_e32 v14, v11
	v_mov_b32_e32 v15, v7
	s_branch .LBB36_14
.LBB36_13:                              ;   in Loop: Header=BB36_14 Depth=2
	s_or_b32 exec_lo, exec_lo, s1
	v_cmp_le_i32_e64 s0, s22, v15
	v_add_co_u32 v1, s1, 0x80, v1
	s_delay_alu instid0(VALU_DEP_1) | instskip(SKIP_3) | instid1(SALU_CYCLE_1)
	v_add_co_ci_u32_e64 v2, s1, 0, v2, s1
	s_waitcnt vmcnt(0)
	v_fmac_f32_e32 v5, v16, v17
	s_or_b32 s39, s0, s39
	s_and_not1_b32 exec_lo, exec_lo, s39
	s_cbranch_execz .LBB36_3
.LBB36_14:                              ;   Parent Loop BB36_6 Depth=1
                                        ; =>  This Loop Header: Depth=2
                                        ;       Child Loop BB36_20 Depth 3
	global_load_b32 v16, v[1:2], off
	v_lshl_add_u32 v3, v14, 1, s30
	v_mov_b32_e32 v17, 0
	s_mov_b32 s40, exec_lo
	s_delay_alu instid0(VALU_DEP_2)
	v_cmpx_lt_i32_e32 -1, v3
	s_cbranch_execz .LBB36_18
; %bb.15:                               ;   in Loop: Header=BB36_14 Depth=2
	v_lshl_add_u32 v18, v15, 1, s29
	v_cmp_gt_i32_e64 s0, s19, v3
	v_mov_b32_e32 v17, 0
	s_delay_alu instid0(VALU_DEP_3) | instskip(SKIP_1) | instid1(VALU_DEP_2)
	v_cmp_gt_i32_e64 s1, s18, v18
	v_cmp_lt_i32_e64 s2, -1, v18
	s_and_b32 s0, s0, s1
	s_delay_alu instid0(VALU_DEP_1) | instid1(SALU_CYCLE_1)
	s_and_b32 s0, s0, s2
	s_delay_alu instid0(SALU_CYCLE_1)
	s_and_saveexec_b32 s1, s0
	s_cbranch_execz .LBB36_17
; %bb.16:                               ;   in Loop: Header=BB36_14 Depth=2
	v_mad_u64_u32 v[19:20], null, v18, s19, v[3:4]
	v_mov_b32_e32 v20, v8
	s_delay_alu instid0(VALU_DEP_1) | instskip(NEXT) | instid1(VALU_DEP_1)
	v_lshlrev_b64 v[17:18], 2, v[19:20]
	v_add_co_u32 v17, s0, v12, v17
	s_delay_alu instid0(VALU_DEP_1)
	v_add_co_ci_u32_e64 v18, s0, v13, v18, s0
	global_load_b32 v17, v[17:18], off
.LBB36_17:                              ;   in Loop: Header=BB36_14 Depth=2
	s_or_b32 exec_lo, exec_lo, s1
.LBB36_18:                              ;   in Loop: Header=BB36_14 Depth=2
	s_delay_alu instid0(SALU_CYCLE_1) | instskip(SKIP_2) | instid1(VALU_DEP_1)
	s_or_b32 exec_lo, exec_lo, s40
	v_add_nc_u32_e32 v14, 32, v14
	s_mov_b32 s1, exec_lo
	v_cmpx_le_i32_e64 s23, v14
	s_cbranch_execz .LBB36_13
; %bb.19:                               ;   in Loop: Header=BB36_14 Depth=2
	s_mov_b32 s2, 0
.LBB36_20:                              ;   Parent Loop BB36_6 Depth=1
                                        ;     Parent Loop BB36_14 Depth=2
                                        ; =>    This Inner Loop Header: Depth=3
	v_subrev_nc_u32_e32 v14, s23, v14
	v_add_nc_u32_e32 v15, 1, v15
	s_delay_alu instid0(VALU_DEP_2) | instskip(NEXT) | instid1(VALU_DEP_1)
	v_cmp_gt_i32_e64 s0, s23, v14
	s_or_b32 s2, s0, s2
	s_delay_alu instid0(SALU_CYCLE_1)
	s_and_not1_b32 exec_lo, exec_lo, s2
	s_cbranch_execnz .LBB36_20
; %bb.21:                               ;   in Loop: Header=BB36_14 Depth=2
	s_or_b32 exec_lo, exec_lo, s2
	s_branch .LBB36_13
.LBB36_22:
	s_or_b32 exec_lo, exec_lo, s28
.LBB36_23:
	s_delay_alu instid0(SALU_CYCLE_1) | instskip(SKIP_2) | instid1(SALU_CYCLE_1)
	s_or_b32 exec_lo, exec_lo, s36
	v_lshl_add_u32 v1, v0, 2, 0
	s_bcnt1_i32_b32 s0, s16
	s_cmp_lg_u32 s0, 1
	s_mov_b32 s0, -1
	ds_store_b32 v1, v5
	s_waitcnt lgkmcnt(0)
	s_barrier
	buffer_gl0_inv
	s_cbranch_scc1 .LBB36_32
; %bb.24:
	s_and_not1_b32 vcc_lo, exec_lo, s0
	s_cbranch_vccnz .LBB36_28
.LBB36_25:
	s_cmp_lt_u32 s16, 2
	s_cbranch_scc0 .LBB36_30
.LBB36_26:
	s_mov_b32 s0, exec_lo
	v_cmpx_eq_u32_e32 0, v0
	s_cbranch_execz .LBB36_28
; %bb.27:
	s_mul_i32 s0, s7, s33
	v_mov_b32_e32 v0, 0
	s_ashr_i32 s1, s0, 31
	s_mul_i32 s6, s8, s6
	s_lshl_b64 s[0:1], s[0:1], 2
	s_mul_i32 s4, s9, s5
	ds_load_b32 v1, v0
	s_add_u32 s2, s34, s0
	s_addc_u32 s8, s35, s1
	s_ashr_i32 s7, s6, 31
	s_delay_alu instid0(SALU_CYCLE_1) | instskip(NEXT) | instid1(SALU_CYCLE_1)
	s_lshl_b64 s[0:1], s[6:7], 2
	s_add_u32 s2, s2, s0
	s_addc_u32 s6, s8, s1
	s_ashr_i32 s5, s4, 31
	s_delay_alu instid0(SALU_CYCLE_1) | instskip(NEXT) | instid1(SALU_CYCLE_1)
	s_lshl_b64 s[0:1], s[4:5], 2
	s_add_u32 s2, s2, s0
	s_mul_i32 s0, s10, s3
	s_addc_u32 s3, s6, s1
	s_ashr_i32 s1, s0, 31
	s_delay_alu instid0(SALU_CYCLE_1) | instskip(NEXT) | instid1(SALU_CYCLE_1)
	s_lshl_b64 s[0:1], s[0:1], 2
	s_add_u32 s0, s2, s0
	s_addc_u32 s1, s3, s1
	s_waitcnt lgkmcnt(0)
	global_store_b32 v0, v1, s[0:1]
.LBB36_28:
	s_nop 0
	s_sendmsg sendmsg(MSG_DEALLOC_VGPRS)
	s_endpgm
	.p2align	6
.LBB36_29:                              ;   in Loop: Header=BB36_30 Depth=1
	s_or_b32 exec_lo, exec_lo, s1
	s_cmp_lt_u32 s16, 4
	s_mov_b32 s16, s0
	s_waitcnt lgkmcnt(0)
	s_barrier
	buffer_gl0_inv
	s_cbranch_scc1 .LBB36_26
.LBB36_30:                              ; =>This Inner Loop Header: Depth=1
	s_lshr_b32 s0, s16, 1
	s_mov_b32 s1, exec_lo
	v_cmpx_gt_u32_e64 s0, v0
	s_cbranch_execz .LBB36_29
; %bb.31:                               ;   in Loop: Header=BB36_30 Depth=1
	v_lshl_add_u32 v2, s0, 2, v1
	ds_load_b32 v2, v2
	ds_load_b32 v3, v1
	s_waitcnt lgkmcnt(0)
	v_add_f32_e32 v2, v2, v3
	ds_store_b32 v1, v2
	s_branch .LBB36_29
.LBB36_32:
	s_cbranch_execnz .LBB36_34
; %bb.33:
	; divergent unreachable
	s_cbranch_execz .LBB36_25
	s_branch .LBB36_28
.LBB36_34:
	s_trap 2
	s_sendmsg_rtn_b32 s0, sendmsg(MSG_RTN_GET_DOORBELL)
	s_mov_b32 ttmp2, m0
	s_waitcnt lgkmcnt(0)
	s_and_b32 s0, s0, 0x3ff
	s_delay_alu instid0(SALU_CYCLE_1) | instskip(NEXT) | instid1(SALU_CYCLE_1)
	s_bitset1_b32 s0, 10
	s_mov_b32 m0, s0
	s_sendmsg sendmsg(MSG_INTERRUPT)
	s_mov_b32 m0, ttmp2
.LBB36_35:                              ; =>This Inner Loop Header: Depth=1
	s_sethalt 5
	s_branch .LBB36_35
	.section	.rodata,"a",@progbits
	.p2align	6, 0x0
	.amdhsa_kernel _ZN2at6native12_GLOBAL__N_144conv_depthwise3d_cuda_backward_weight_kernelIffLi2ELi2EEEvN5torch10headeronly6detail27GenericPackedTensorAccessorINS5_14TensorAccessorIN3c108ArrayRefIlEEKT_Lm4ENS4_16DefaultPtrTraitsEiEENS_6detail16IndexBoundsCheckILm5EiEESC_Lm5ESD_iEESI_NS6_INS7_ISA_SB_Lm4ESD_iEESH_SB_Lm5ESD_iEEiiiiiiiii
		.amdhsa_group_segment_fixed_size 0
		.amdhsa_private_segment_fixed_size 0
		.amdhsa_kernarg_size 440
		.amdhsa_user_sgpr_count 15
		.amdhsa_user_sgpr_dispatch_ptr 0
		.amdhsa_user_sgpr_queue_ptr 0
		.amdhsa_user_sgpr_kernarg_segment_ptr 1
		.amdhsa_user_sgpr_dispatch_id 0
		.amdhsa_user_sgpr_private_segment_size 0
		.amdhsa_wavefront_size32 1
		.amdhsa_uses_dynamic_stack 0
		.amdhsa_enable_private_segment 0
		.amdhsa_system_sgpr_workgroup_id_x 1
		.amdhsa_system_sgpr_workgroup_id_y 0
		.amdhsa_system_sgpr_workgroup_id_z 0
		.amdhsa_system_sgpr_workgroup_info 0
		.amdhsa_system_vgpr_workitem_id 0
		.amdhsa_next_free_vgpr 21
		.amdhsa_next_free_sgpr 47
		.amdhsa_reserve_vcc 1
		.amdhsa_float_round_mode_32 0
		.amdhsa_float_round_mode_16_64 0
		.amdhsa_float_denorm_mode_32 3
		.amdhsa_float_denorm_mode_16_64 3
		.amdhsa_dx10_clamp 1
		.amdhsa_ieee_mode 1
		.amdhsa_fp16_overflow 0
		.amdhsa_workgroup_processor_mode 1
		.amdhsa_memory_ordered 1
		.amdhsa_forward_progress 0
		.amdhsa_shared_vgpr_count 0
		.amdhsa_exception_fp_ieee_invalid_op 0
		.amdhsa_exception_fp_denorm_src 0
		.amdhsa_exception_fp_ieee_div_zero 0
		.amdhsa_exception_fp_ieee_overflow 0
		.amdhsa_exception_fp_ieee_underflow 0
		.amdhsa_exception_fp_ieee_inexact 0
		.amdhsa_exception_int_div_zero 0
	.end_amdhsa_kernel
	.section	.text._ZN2at6native12_GLOBAL__N_144conv_depthwise3d_cuda_backward_weight_kernelIffLi2ELi2EEEvN5torch10headeronly6detail27GenericPackedTensorAccessorINS5_14TensorAccessorIN3c108ArrayRefIlEEKT_Lm4ENS4_16DefaultPtrTraitsEiEENS_6detail16IndexBoundsCheckILm5EiEESC_Lm5ESD_iEESI_NS6_INS7_ISA_SB_Lm4ESD_iEESH_SB_Lm5ESD_iEEiiiiiiiii,"axG",@progbits,_ZN2at6native12_GLOBAL__N_144conv_depthwise3d_cuda_backward_weight_kernelIffLi2ELi2EEEvN5torch10headeronly6detail27GenericPackedTensorAccessorINS5_14TensorAccessorIN3c108ArrayRefIlEEKT_Lm4ENS4_16DefaultPtrTraitsEiEENS_6detail16IndexBoundsCheckILm5EiEESC_Lm5ESD_iEESI_NS6_INS7_ISA_SB_Lm4ESD_iEESH_SB_Lm5ESD_iEEiiiiiiiii,comdat
.Lfunc_end36:
	.size	_ZN2at6native12_GLOBAL__N_144conv_depthwise3d_cuda_backward_weight_kernelIffLi2ELi2EEEvN5torch10headeronly6detail27GenericPackedTensorAccessorINS5_14TensorAccessorIN3c108ArrayRefIlEEKT_Lm4ENS4_16DefaultPtrTraitsEiEENS_6detail16IndexBoundsCheckILm5EiEESC_Lm5ESD_iEESI_NS6_INS7_ISA_SB_Lm4ESD_iEESH_SB_Lm5ESD_iEEiiiiiiiii, .Lfunc_end36-_ZN2at6native12_GLOBAL__N_144conv_depthwise3d_cuda_backward_weight_kernelIffLi2ELi2EEEvN5torch10headeronly6detail27GenericPackedTensorAccessorINS5_14TensorAccessorIN3c108ArrayRefIlEEKT_Lm4ENS4_16DefaultPtrTraitsEiEENS_6detail16IndexBoundsCheckILm5EiEESC_Lm5ESD_iEESI_NS6_INS7_ISA_SB_Lm4ESD_iEESH_SB_Lm5ESD_iEEiiiiiiiii
                                        ; -- End function
	.section	.AMDGPU.csdata,"",@progbits
; Kernel info:
; codeLenInByte = 2260
; NumSgprs: 49
; NumVgprs: 21
; ScratchSize: 0
; MemoryBound: 0
; FloatMode: 240
; IeeeMode: 1
; LDSByteSize: 0 bytes/workgroup (compile time only)
; SGPRBlocks: 6
; VGPRBlocks: 2
; NumSGPRsForWavesPerEU: 49
; NumVGPRsForWavesPerEU: 21
; Occupancy: 16
; WaveLimiterHint : 1
; COMPUTE_PGM_RSRC2:SCRATCH_EN: 0
; COMPUTE_PGM_RSRC2:USER_SGPR: 15
; COMPUTE_PGM_RSRC2:TRAP_HANDLER: 0
; COMPUTE_PGM_RSRC2:TGID_X_EN: 1
; COMPUTE_PGM_RSRC2:TGID_Y_EN: 0
; COMPUTE_PGM_RSRC2:TGID_Z_EN: 0
; COMPUTE_PGM_RSRC2:TIDIG_COMP_CNT: 0
	.section	.text._ZN2at6native12_GLOBAL__N_144conv_depthwise3d_cuda_backward_weight_kernelIffLin1ELin1EEEvN5torch10headeronly6detail27GenericPackedTensorAccessorINS5_14TensorAccessorIN3c108ArrayRefIlEEKT_Lm4ENS4_16DefaultPtrTraitsEiEENS_6detail16IndexBoundsCheckILm5EiEESC_Lm5ESD_iEESI_NS6_INS7_ISA_SB_Lm4ESD_iEESH_SB_Lm5ESD_iEEiiiiiiiii,"axG",@progbits,_ZN2at6native12_GLOBAL__N_144conv_depthwise3d_cuda_backward_weight_kernelIffLin1ELin1EEEvN5torch10headeronly6detail27GenericPackedTensorAccessorINS5_14TensorAccessorIN3c108ArrayRefIlEEKT_Lm4ENS4_16DefaultPtrTraitsEiEENS_6detail16IndexBoundsCheckILm5EiEESC_Lm5ESD_iEESI_NS6_INS7_ISA_SB_Lm4ESD_iEESH_SB_Lm5ESD_iEEiiiiiiiii,comdat
	.globl	_ZN2at6native12_GLOBAL__N_144conv_depthwise3d_cuda_backward_weight_kernelIffLin1ELin1EEEvN5torch10headeronly6detail27GenericPackedTensorAccessorINS5_14TensorAccessorIN3c108ArrayRefIlEEKT_Lm4ENS4_16DefaultPtrTraitsEiEENS_6detail16IndexBoundsCheckILm5EiEESC_Lm5ESD_iEESI_NS6_INS7_ISA_SB_Lm4ESD_iEESH_SB_Lm5ESD_iEEiiiiiiiii ; -- Begin function _ZN2at6native12_GLOBAL__N_144conv_depthwise3d_cuda_backward_weight_kernelIffLin1ELin1EEEvN5torch10headeronly6detail27GenericPackedTensorAccessorINS5_14TensorAccessorIN3c108ArrayRefIlEEKT_Lm4ENS4_16DefaultPtrTraitsEiEENS_6detail16IndexBoundsCheckILm5EiEESC_Lm5ESD_iEESI_NS6_INS7_ISA_SB_Lm4ESD_iEESH_SB_Lm5ESD_iEEiiiiiiiii
	.p2align	8
	.type	_ZN2at6native12_GLOBAL__N_144conv_depthwise3d_cuda_backward_weight_kernelIffLin1ELin1EEEvN5torch10headeronly6detail27GenericPackedTensorAccessorINS5_14TensorAccessorIN3c108ArrayRefIlEEKT_Lm4ENS4_16DefaultPtrTraitsEiEENS_6detail16IndexBoundsCheckILm5EiEESC_Lm5ESD_iEESI_NS6_INS7_ISA_SB_Lm4ESD_iEESH_SB_Lm5ESD_iEEiiiiiiiii,@function
_ZN2at6native12_GLOBAL__N_144conv_depthwise3d_cuda_backward_weight_kernelIffLin1ELin1EEEvN5torch10headeronly6detail27GenericPackedTensorAccessorINS5_14TensorAccessorIN3c108ArrayRefIlEEKT_Lm4ENS4_16DefaultPtrTraitsEiEENS_6detail16IndexBoundsCheckILm5EiEESC_Lm5ESD_iEESI_NS6_INS7_ISA_SB_Lm4ESD_iEESH_SB_Lm5ESD_iEEiiiiiiiii: ; @_ZN2at6native12_GLOBAL__N_144conv_depthwise3d_cuda_backward_weight_kernelIffLin1ELin1EEEvN5torch10headeronly6detail27GenericPackedTensorAccessorINS5_14TensorAccessorIN3c108ArrayRefIlEEKT_Lm4ENS4_16DefaultPtrTraitsEiEENS_6detail16IndexBoundsCheckILm5EiEESC_Lm5ESD_iEESI_NS6_INS7_ISA_SB_Lm4ESD_iEESH_SB_Lm5ESD_iEEiiiiiiiii
; %bb.0:
	s_load_b128 s[16:19], s[0:1], 0x70
	s_add_u32 s2, s0, 0x60
	s_addc_u32 s3, s1, 0
	s_clause 0x1
	s_load_b128 s[20:23], s[0:1], 0x3c
	s_load_b128 s[24:27], s[0:1], 0xc
	s_waitcnt lgkmcnt(0)
	v_cvt_f32_u32_e32 v1, s18
	v_cvt_f32_u32_e32 v2, s17
	s_sub_i32 s5, 0, s18
	s_delay_alu instid0(VALU_DEP_2) | instskip(NEXT) | instid1(VALU_DEP_1)
	v_rcp_iflag_f32_e32 v1, v1
	v_rcp_iflag_f32_e32 v2, v2
	s_waitcnt_depctr 0xfff
	v_dual_mul_f32 v1, 0x4f7ffffe, v1 :: v_dual_mul_f32 v2, 0x4f7ffffe, v2
	s_delay_alu instid0(VALU_DEP_1) | instskip(NEXT) | instid1(VALU_DEP_2)
	v_cvt_u32_f32_e32 v1, v1
	v_cvt_u32_f32_e32 v2, v2
	s_delay_alu instid0(VALU_DEP_2) | instskip(SKIP_1) | instid1(VALU_DEP_3)
	v_readfirstlane_b32 s4, v1
	v_cvt_f32_u32_e32 v1, s16
	v_readfirstlane_b32 s8, v2
	s_delay_alu instid0(VALU_DEP_3) | instskip(NEXT) | instid1(VALU_DEP_2)
	s_mul_i32 s5, s5, s4
	v_rcp_iflag_f32_e32 v1, v1
	s_mul_hi_u32 s5, s4, s5
	s_delay_alu instid0(SALU_CYCLE_1) | instskip(NEXT) | instid1(SALU_CYCLE_1)
	s_add_i32 s4, s4, s5
	s_mul_hi_u32 s4, s15, s4
	s_delay_alu instid0(SALU_CYCLE_1)
	s_mul_i32 s5, s4, s18
	s_add_i32 s6, s4, 1
	s_sub_i32 s5, s15, s5
	s_waitcnt_depctr 0xfff
	v_mul_f32_e32 v1, 0x4f7ffffe, v1
	s_sub_i32 s7, s5, s18
	s_cmp_ge_u32 s5, s18
	s_cselect_b32 s4, s6, s4
	s_cselect_b32 s5, s7, s5
	s_add_i32 s6, s4, 1
	s_cmp_ge_u32 s5, s18
	v_cvt_u32_f32_e32 v1, v1
	s_cselect_b32 s12, s6, s4
	s_sub_i32 s4, 0, s17
	s_delay_alu instid0(SALU_CYCLE_1) | instskip(NEXT) | instid1(SALU_CYCLE_1)
	s_mul_i32 s4, s4, s8
	s_mul_hi_u32 s4, s8, s4
	s_delay_alu instid0(SALU_CYCLE_1) | instskip(NEXT) | instid1(SALU_CYCLE_1)
	s_add_i32 s8, s8, s4
	s_mul_hi_u32 s4, s12, s8
	v_readfirstlane_b32 s8, v1
	s_mul_i32 s5, s4, s17
	s_add_i32 s6, s4, 1
	s_sub_i32 s5, s12, s5
	s_delay_alu instid0(SALU_CYCLE_1)
	s_sub_i32 s7, s5, s17
	s_cmp_ge_u32 s5, s17
	s_cselect_b32 s4, s6, s4
	s_cselect_b32 s5, s7, s5
	s_add_i32 s6, s4, 1
	s_cmp_ge_u32 s5, s17
	s_cselect_b32 s13, s6, s4
	s_sub_i32 s4, 0, s16
	s_delay_alu instid0(SALU_CYCLE_1) | instskip(NEXT) | instid1(SALU_CYCLE_1)
	s_mul_i32 s4, s4, s8
	s_mul_hi_u32 s4, s8, s4
	s_delay_alu instid0(SALU_CYCLE_1) | instskip(NEXT) | instid1(SALU_CYCLE_1)
	s_add_i32 s8, s8, s4
	s_mul_hi_u32 s4, s13, s8
	s_delay_alu instid0(SALU_CYCLE_1) | instskip(SKIP_2) | instid1(SALU_CYCLE_1)
	s_mul_i32 s5, s4, s16
	s_add_i32 s6, s4, 1
	s_sub_i32 s5, s13, s5
	s_sub_i32 s7, s5, s16
	s_cmp_ge_u32 s5, s16
	s_cselect_b32 s4, s6, s4
	s_cselect_b32 s5, s7, s5
	s_add_i32 s6, s4, 1
	s_cmp_ge_u32 s5, s16
	s_cselect_b32 s33, s6, s4
	s_abs_i32 s4, s20
	s_abs_i32 s7, s24
	v_cvt_f32_u32_e32 v1, s4
	s_sub_i32 s6, 0, s4
	s_delay_alu instid0(VALU_DEP_1) | instskip(SKIP_2) | instid1(VALU_DEP_1)
	v_rcp_iflag_f32_e32 v1, v1
	s_waitcnt_depctr 0xfff
	v_mul_f32_e32 v1, 0x4f7ffffe, v1
	v_cvt_u32_f32_e32 v1, v1
	s_delay_alu instid0(VALU_DEP_1) | instskip(NEXT) | instid1(VALU_DEP_1)
	v_readfirstlane_b32 s5, v1
	s_mul_i32 s6, s6, s5
	s_delay_alu instid0(SALU_CYCLE_1) | instskip(NEXT) | instid1(SALU_CYCLE_1)
	s_mul_hi_u32 s6, s5, s6
	s_add_i32 s5, s5, s6
	s_xor_b32 s6, s24, s20
	s_mul_hi_u32 s5, s7, s5
	s_ashr_i32 s6, s6, 31
	s_mul_i32 s8, s5, s4
	s_delay_alu instid0(SALU_CYCLE_1)
	s_sub_i32 s7, s7, s8
	s_add_i32 s8, s5, 1
	s_sub_i32 s9, s7, s4
	s_cmp_ge_u32 s7, s4
	s_cselect_b32 s5, s8, s5
	s_cselect_b32 s7, s9, s7
	s_add_i32 s8, s5, 1
	s_cmp_ge_u32 s7, s4
	s_cselect_b32 s4, s8, s5
	s_delay_alu instid0(SALU_CYCLE_1) | instskip(NEXT) | instid1(SALU_CYCLE_1)
	s_xor_b32 s4, s4, s6
	s_sub_i32 s14, s4, s6
	s_load_b32 s4, s[0:1], 0x68
	s_abs_i32 s43, s14
	s_delay_alu instid0(SALU_CYCLE_1) | instskip(NEXT) | instid1(VALU_DEP_1)
	v_cvt_f32_u32_e32 v1, s43
	v_rcp_iflag_f32_e32 v1, v1
	s_waitcnt_depctr 0xfff
	v_mul_f32_e32 v1, 0x4f7ffffe, v1
	s_waitcnt lgkmcnt(0)
	s_cmp_ge_i32 s33, s4
	s_delay_alu instid0(VALU_DEP_1) | instskip(NEXT) | instid1(VALU_DEP_1)
	v_cvt_u32_f32_e32 v1, v1
	v_readfirstlane_b32 s28, v1
	s_cbranch_scc1 .LBB37_28
; %bb.1:
	s_clause 0x1
	s_load_b32 s40, s[0:1], 0x38
	s_load_b128 s[36:39], s[2:3], 0x44
	s_load_b32 s24, s[0:1], 0xc4
	s_clause 0x1
	s_load_b64 s[34:35], s[2:3], 0x0
	s_load_b256 s[4:11], s[2:3], 0x24
	v_lshrrev_b32_e32 v6, 5, v0
	v_mov_b32_e32 v7, 0
	s_mul_i32 s2, s12, s18
	s_mul_i32 s17, s13, s17
	s_mul_i32 s16, s33, s16
	s_sub_i32 s3, s15, s2
	s_sub_i32 s17, s12, s17
	;; [unrolled: 1-line block ×3, first 2 shown]
	s_mov_b32 s41, exec_lo
	s_waitcnt lgkmcnt(0)
	s_mul_i32 s40, s40, s25
	s_and_b32 s24, s24, 0xffff
	v_cmpx_gt_i32_e64 s40, v6
	s_cbranch_execz .LBB37_23
; %bb.2:
	s_sub_i32 s2, 0, s43
	s_ashr_i32 s18, s14, 31
	s_mul_i32 s2, s2, s28
	s_abs_i32 s29, s33
	s_mul_hi_u32 s2, s28, s2
	s_clause 0x1
	s_load_b64 s[44:45], s[0:1], 0x0
	s_load_b128 s[12:15], s[0:1], 0x1c
	s_add_i32 s28, s28, s2
	s_ashr_i32 s16, s33, 31
	s_mul_hi_u32 s2, s29, s28
	s_lshr_b32 s42, s24, 5
	s_waitcnt lgkmcnt(0)
	s_mul_i32 s15, s2, s43
	s_xor_b32 s16, s16, s18
	s_sub_i32 s15, s29, s15
	s_load_b128 s[28:31], s[0:1], 0x4c
	s_add_i32 s18, s2, 1
	s_sub_i32 s46, s15, s43
	s_cmp_ge_u32 s15, s43
	s_load_b64 s[0:1], s[0:1], 0x30
	s_cselect_b32 s2, s18, s2
	s_cselect_b32 s15, s46, s15
	s_add_i32 s18, s2, 1
	s_cmp_ge_u32 s15, s43
	v_mov_b32_e32 v10, 0
	s_cselect_b32 s2, s18, s2
	s_ashr_i32 s18, s25, 31
	s_mul_i32 s46, s13, s33
	s_xor_b32 s2, s2, s16
	s_ashr_i32 s47, s46, 31
	s_sub_i32 s2, s2, s16
	s_abs_i32 s16, s25
	s_mul_i32 s13, s20, s37
	s_lshl_b64 s[46:47], s[46:47], 2
	s_sub_i32 s43, 0, s16
	s_sub_i32 s10, s13, s10
	s_add_u32 s13, s44, s46
	s_waitcnt lgkmcnt(0)
	s_mul_i32 s44, s29, s2
	s_addc_u32 s15, s45, s47
	s_ashr_i32 s45, s44, 31
	v_cvt_f32_u32_e32 v1, s16
	s_lshl_b64 s[44:45], s[44:45], 2
	s_mov_b32 s37, 0
	s_add_u32 s29, s0, s44
	s_addc_u32 s31, s1, s45
	s_abs_i32 s1, s27
	v_rcp_iflag_f32_e32 v1, v1
	v_cvt_f32_u32_e32 v2, s1
	s_sub_i32 s0, 0, s1
	s_delay_alu instid0(VALU_DEP_1) | instskip(SKIP_2) | instid1(VALU_DEP_1)
	v_rcp_iflag_f32_e32 v2, v2
	s_waitcnt_depctr 0xfff
	v_dual_mul_f32 v1, 0x4f7ffffe, v1 :: v_dual_mul_f32 v2, 0x4f7ffffe, v2
	v_cvt_u32_f32_e32 v1, v1
	s_delay_alu instid0(VALU_DEP_2) | instskip(NEXT) | instid1(VALU_DEP_2)
	v_cvt_u32_f32_e32 v2, v2
	v_mul_lo_u32 v3, s43, v1
	s_delay_alu instid0(VALU_DEP_2) | instskip(NEXT) | instid1(VALU_DEP_2)
	v_mul_lo_u32 v4, s0, v2
	v_mul_hi_u32 v3, v1, v3
	s_delay_alu instid0(VALU_DEP_2) | instskip(NEXT) | instid1(VALU_DEP_2)
	v_mul_hi_u32 v4, v2, v4
	v_add_nc_u32_e32 v1, v1, v3
	s_delay_alu instid0(VALU_DEP_1) | instskip(NEXT) | instid1(VALU_DEP_1)
	v_mul_hi_u32 v1, v6, v1
	v_add_nc_u32_e32 v7, 1, v1
	s_delay_alu instid0(VALU_DEP_4) | instskip(SKIP_1) | instid1(VALU_DEP_1)
	v_add_nc_u32_e32 v2, v2, v4
	v_mul_lo_u32 v4, v1, s16
	v_sub_nc_u32_e32 v4, v6, v4
	s_delay_alu instid0(VALU_DEP_1) | instskip(SKIP_2) | instid1(VALU_DEP_1)
	v_cmp_le_u32_e32 vcc_lo, s16, v4
	v_cndmask_b32_e32 v1, v1, v7, vcc_lo
	v_subrev_nc_u32_e32 v7, s16, v4
	v_dual_cndmask_b32 v4, v4, v7 :: v_dual_and_b32 v3, 31, v0
	s_delay_alu instid0(VALU_DEP_1) | instskip(NEXT) | instid1(VALU_DEP_4)
	v_mul_hi_u32 v2, v3, v2
	v_add_nc_u32_e32 v7, 1, v1
	v_lshlrev_b32_e32 v11, 2, v3
	s_delay_alu instid0(VALU_DEP_4) | instskip(NEXT) | instid1(VALU_DEP_4)
	v_cmp_le_u32_e32 vcc_lo, s16, v4
	v_mul_lo_u32 v5, v2, s1
	s_delay_alu instid0(VALU_DEP_4) | instskip(SKIP_1) | instid1(VALU_DEP_2)
	v_dual_cndmask_b32 v1, v1, v7 :: v_dual_add_nc_u32 v8, 1, v2
	v_mov_b32_e32 v7, 0
	v_xor_b32_e32 v1, s18, v1
	s_delay_alu instid0(VALU_DEP_4) | instskip(NEXT) | instid1(VALU_DEP_1)
	v_sub_nc_u32_e32 v5, v3, v5
	v_subrev_nc_u32_e32 v9, s1, v5
	v_cmp_le_u32_e64 s0, s1, v5
	s_delay_alu instid0(VALU_DEP_1) | instskip(NEXT) | instid1(VALU_DEP_3)
	v_cndmask_b32_e64 v2, v2, v8, s0
	v_cndmask_b32_e64 v5, v5, v9, s0
	s_ashr_i32 s0, s27, 31
	s_delay_alu instid0(VALU_DEP_2) | instskip(NEXT) | instid1(VALU_DEP_2)
	v_add_nc_u32_e32 v8, 1, v2
	v_cmp_le_u32_e32 vcc_lo, s1, v5
	s_mul_i32 s1, s17, s38
	s_delay_alu instid0(VALU_DEP_2) | instskip(SKIP_2) | instid1(VALU_DEP_2)
	v_cndmask_b32_e32 v2, v2, v8, vcc_lo
	v_subrev_nc_u32_e32 v8, s18, v1
	s_sub_i32 s18, s1, s11
	v_xor_b32_e32 v2, s0, v2
	s_delay_alu instid0(VALU_DEP_2) | instskip(NEXT) | instid1(VALU_DEP_2)
	v_mul_lo_u32 v1, v8, s25
	v_subrev_nc_u32_e32 v9, s0, v2
	s_mul_i32 s0, s3, s39
	s_delay_alu instid0(SALU_CYCLE_1) | instskip(NEXT) | instid1(VALU_DEP_2)
	s_sub_i32 s16, s0, s36
	v_sub_nc_u32_e32 v12, v6, v1
	s_delay_alu instid0(VALU_DEP_2) | instskip(SKIP_1) | instid1(VALU_DEP_2)
	v_mul_lo_u32 v2, v9, s27
	v_cmp_gt_i32_e32 vcc_lo, s26, v9
	v_sub_nc_u32_e32 v13, v3, v2
	s_branch .LBB37_6
.LBB37_3:                               ;   in Loop: Header=BB37_6 Depth=1
	s_or_b32 exec_lo, exec_lo, s38
.LBB37_4:                               ;   in Loop: Header=BB37_6 Depth=1
	s_delay_alu instid0(SALU_CYCLE_1)
	s_or_b32 exec_lo, exec_lo, s36
.LBB37_5:                               ;   in Loop: Header=BB37_6 Depth=1
	s_delay_alu instid0(SALU_CYCLE_1) | instskip(SKIP_2) | instid1(VALU_DEP_2)
	s_or_b32 exec_lo, exec_lo, s11
	v_add_nc_u32_e32 v6, s42, v6
	v_add_nc_u32_e32 v12, s42, v12
	v_cmp_le_i32_e64 s0, s40, v6
	s_delay_alu instid0(VALU_DEP_1) | instskip(NEXT) | instid1(SALU_CYCLE_1)
	s_or_b32 s37, s0, s37
	s_and_not1_b32 exec_lo, exec_lo, s37
	s_cbranch_execz .LBB37_22
.LBB37_6:                               ; =>This Loop Header: Depth=1
                                        ;     Child Loop BB37_8 Depth 2
                                        ;     Child Loop BB37_14 Depth 2
                                        ;       Child Loop BB37_20 Depth 3
	s_mov_b32 s1, exec_lo
	v_cmpx_le_i32_e64 s25, v12
	s_cbranch_execz .LBB37_10
; %bb.7:                                ;   in Loop: Header=BB37_6 Depth=1
	s_mov_b32 s2, 0
.LBB37_8:                               ;   Parent Loop BB37_6 Depth=1
                                        ; =>  This Inner Loop Header: Depth=2
	v_subrev_nc_u32_e32 v12, s25, v12
	v_add_nc_u32_e32 v8, 1, v8
	s_delay_alu instid0(VALU_DEP_2) | instskip(NEXT) | instid1(VALU_DEP_1)
	v_cmp_gt_i32_e64 s0, s25, v12
	s_or_b32 s2, s0, s2
	s_delay_alu instid0(SALU_CYCLE_1)
	s_and_not1_b32 exec_lo, exec_lo, s2
	s_cbranch_execnz .LBB37_8
; %bb.9:                                ;   in Loop: Header=BB37_6 Depth=1
	s_or_b32 exec_lo, exec_lo, s2
.LBB37_10:                              ;   in Loop: Header=BB37_6 Depth=1
	s_delay_alu instid0(SALU_CYCLE_1) | instskip(SKIP_1) | instid1(VALU_DEP_1)
	s_or_b32 exec_lo, exec_lo, s1
	v_mad_u64_u32 v[1:2], null, v12, s7, s[10:11]
	v_cmp_lt_i32_e64 s0, -1, v1
	v_cmp_gt_i32_e64 s1, s21, v1
	s_delay_alu instid0(VALU_DEP_1) | instskip(NEXT) | instid1(SALU_CYCLE_1)
	s_and_b32 s0, s0, s1
	s_and_saveexec_b32 s11, s0
	s_cbranch_execz .LBB37_5
; %bb.11:                               ;   in Loop: Header=BB37_6 Depth=1
	s_and_saveexec_b32 s36, vcc_lo
	s_cbranch_execz .LBB37_4
; %bb.12:                               ;   in Loop: Header=BB37_6 Depth=1
	v_mul_lo_u32 v2, s12, v8
	v_mul_lo_u32 v4, s28, v8
	;; [unrolled: 1-line block ×4, first 2 shown]
	s_mov_b32 s38, 0
	s_delay_alu instid0(VALU_DEP_4) | instskip(NEXT) | instid1(VALU_DEP_4)
	v_ashrrev_i32_e32 v3, 31, v2
	v_ashrrev_i32_e32 v5, 31, v4
	s_delay_alu instid0(VALU_DEP_4) | instskip(NEXT) | instid1(VALU_DEP_4)
	v_ashrrev_i32_e32 v17, 31, v16
	v_ashrrev_i32_e32 v15, 31, v14
	s_delay_alu instid0(VALU_DEP_4) | instskip(NEXT) | instid1(VALU_DEP_4)
	v_lshlrev_b64 v[1:2], 2, v[2:3]
	v_lshlrev_b64 v[3:4], 2, v[4:5]
	s_delay_alu instid0(VALU_DEP_4) | instskip(NEXT) | instid1(VALU_DEP_4)
	v_lshlrev_b64 v[16:17], 2, v[16:17]
	v_lshlrev_b64 v[14:15], 2, v[14:15]
	s_delay_alu instid0(VALU_DEP_4) | instskip(NEXT) | instid1(VALU_DEP_1)
	v_add_co_u32 v1, s0, s13, v1
	v_add_co_ci_u32_e64 v2, s0, s15, v2, s0
	v_add_co_u32 v3, s0, s29, v3
	s_delay_alu instid0(VALU_DEP_1) | instskip(NEXT) | instid1(VALU_DEP_4)
	v_add_co_ci_u32_e64 v4, s0, s31, v4, s0
	v_add_co_u32 v1, s0, v1, v16
	s_delay_alu instid0(VALU_DEP_1) | instskip(NEXT) | instid1(VALU_DEP_4)
	;; [unrolled: 3-line block ×3, first 2 shown]
	v_add_co_ci_u32_e64 v15, s0, v4, v15, s0
	v_add_co_u32 v1, s0, v1, v11
	s_delay_alu instid0(VALU_DEP_1)
	v_add_co_ci_u32_e64 v2, s0, 0, v2, s0
	v_mov_b32_e32 v16, v13
	v_mov_b32_e32 v17, v9
	s_branch .LBB37_14
.LBB37_13:                              ;   in Loop: Header=BB37_14 Depth=2
	s_or_b32 exec_lo, exec_lo, s1
	v_cmp_le_i32_e64 s0, s26, v17
	v_add_co_u32 v1, s1, 0x80, v1
	s_delay_alu instid0(VALU_DEP_1) | instskip(SKIP_3) | instid1(SALU_CYCLE_1)
	v_add_co_ci_u32_e64 v2, s1, 0, v2, s1
	s_waitcnt vmcnt(0)
	v_fmac_f32_e32 v7, v18, v5
	s_or_b32 s38, s0, s38
	s_and_not1_b32 exec_lo, exec_lo, s38
	s_cbranch_execz .LBB37_3
.LBB37_14:                              ;   Parent Loop BB37_6 Depth=1
                                        ; =>  This Loop Header: Depth=2
                                        ;       Child Loop BB37_20 Depth 3
	global_load_b32 v18, v[1:2], off
	v_mad_u64_u32 v[3:4], null, v16, s9, s[16:17]
	v_mov_b32_e32 v5, 0
	s_mov_b32 s39, exec_lo
	s_delay_alu instid0(VALU_DEP_2)
	v_cmpx_lt_i32_e32 -1, v3
	s_cbranch_execz .LBB37_18
; %bb.15:                               ;   in Loop: Header=BB37_14 Depth=2
	v_mad_u64_u32 v[4:5], null, v17, s8, s[18:19]
	v_cmp_gt_i32_e64 s0, s23, v3
	v_mov_b32_e32 v5, 0
	s_delay_alu instid0(VALU_DEP_3) | instskip(SKIP_1) | instid1(VALU_DEP_2)
	v_cmp_gt_i32_e64 s1, s22, v4
	v_cmp_lt_i32_e64 s2, -1, v4
	s_and_b32 s0, s0, s1
	s_delay_alu instid0(VALU_DEP_1) | instid1(SALU_CYCLE_1)
	s_and_b32 s0, s0, s2
	s_delay_alu instid0(SALU_CYCLE_1)
	s_and_saveexec_b32 s1, s0
	s_cbranch_execz .LBB37_17
; %bb.16:                               ;   in Loop: Header=BB37_14 Depth=2
	v_mad_u64_u32 v[19:20], null, v4, s23, v[3:4]
	v_mov_b32_e32 v20, v10
	s_delay_alu instid0(VALU_DEP_1) | instskip(NEXT) | instid1(VALU_DEP_1)
	v_lshlrev_b64 v[3:4], 2, v[19:20]
	v_add_co_u32 v3, s0, v14, v3
	s_delay_alu instid0(VALU_DEP_1)
	v_add_co_ci_u32_e64 v4, s0, v15, v4, s0
	global_load_b32 v5, v[3:4], off
.LBB37_17:                              ;   in Loop: Header=BB37_14 Depth=2
	s_or_b32 exec_lo, exec_lo, s1
.LBB37_18:                              ;   in Loop: Header=BB37_14 Depth=2
	s_delay_alu instid0(SALU_CYCLE_1) | instskip(SKIP_2) | instid1(VALU_DEP_1)
	s_or_b32 exec_lo, exec_lo, s39
	v_add_nc_u32_e32 v16, 32, v16
	s_mov_b32 s1, exec_lo
	v_cmpx_le_i32_e64 s27, v16
	s_cbranch_execz .LBB37_13
; %bb.19:                               ;   in Loop: Header=BB37_14 Depth=2
	s_mov_b32 s2, 0
.LBB37_20:                              ;   Parent Loop BB37_6 Depth=1
                                        ;     Parent Loop BB37_14 Depth=2
                                        ; =>    This Inner Loop Header: Depth=3
	v_subrev_nc_u32_e32 v16, s27, v16
	v_add_nc_u32_e32 v17, 1, v17
	s_delay_alu instid0(VALU_DEP_2) | instskip(NEXT) | instid1(VALU_DEP_1)
	v_cmp_gt_i32_e64 s0, s27, v16
	s_or_b32 s2, s0, s2
	s_delay_alu instid0(SALU_CYCLE_1)
	s_and_not1_b32 exec_lo, exec_lo, s2
	s_cbranch_execnz .LBB37_20
; %bb.21:                               ;   in Loop: Header=BB37_14 Depth=2
	s_or_b32 exec_lo, exec_lo, s2
	s_branch .LBB37_13
.LBB37_22:
	s_or_b32 exec_lo, exec_lo, s37
.LBB37_23:
	s_delay_alu instid0(SALU_CYCLE_1) | instskip(SKIP_2) | instid1(SALU_CYCLE_1)
	s_or_b32 exec_lo, exec_lo, s41
	v_lshl_add_u32 v1, v0, 2, 0
	s_bcnt1_i32_b32 s0, s24
	s_cmp_lg_u32 s0, 1
	s_mov_b32 s0, -1
	ds_store_b32 v1, v7
	s_waitcnt lgkmcnt(0)
	s_barrier
	buffer_gl0_inv
	s_cbranch_scc1 .LBB37_32
; %bb.24:
	s_and_not1_b32 vcc_lo, exec_lo, s0
	s_cbranch_vccnz .LBB37_28
.LBB37_25:
	s_cmp_lt_u32 s24, 2
	s_cbranch_scc0 .LBB37_30
.LBB37_26:
	s_mov_b32 s0, exec_lo
	v_cmpx_eq_u32_e32 0, v0
	s_cbranch_execz .LBB37_28
; %bb.27:
	s_mul_i32 s0, s19, s33
	v_mov_b32_e32 v0, 0
	s_ashr_i32 s1, s0, 31
	s_mul_i32 s8, s4, s20
	s_lshl_b64 s[0:1], s[0:1], 2
	s_mul_i32 s4, s5, s17
	ds_load_b32 v1, v0
	s_add_u32 s2, s34, s0
	s_addc_u32 s7, s35, s1
	s_ashr_i32 s9, s8, 31
	s_delay_alu instid0(SALU_CYCLE_1) | instskip(NEXT) | instid1(SALU_CYCLE_1)
	s_lshl_b64 s[0:1], s[8:9], 2
	s_add_u32 s2, s2, s0
	s_addc_u32 s7, s7, s1
	s_ashr_i32 s5, s4, 31
	s_delay_alu instid0(SALU_CYCLE_1) | instskip(NEXT) | instid1(SALU_CYCLE_1)
	s_lshl_b64 s[0:1], s[4:5], 2
	s_add_u32 s2, s2, s0
	s_mul_i32 s0, s6, s3
	s_addc_u32 s3, s7, s1
	s_ashr_i32 s1, s0, 31
	s_delay_alu instid0(SALU_CYCLE_1) | instskip(NEXT) | instid1(SALU_CYCLE_1)
	s_lshl_b64 s[0:1], s[0:1], 2
	s_add_u32 s0, s2, s0
	s_addc_u32 s1, s3, s1
	s_waitcnt lgkmcnt(0)
	global_store_b32 v0, v1, s[0:1]
.LBB37_28:
	s_nop 0
	s_sendmsg sendmsg(MSG_DEALLOC_VGPRS)
	s_endpgm
	.p2align	6
.LBB37_29:                              ;   in Loop: Header=BB37_30 Depth=1
	s_or_b32 exec_lo, exec_lo, s1
	s_cmp_lt_u32 s24, 4
	s_mov_b32 s24, s0
	s_waitcnt lgkmcnt(0)
	s_barrier
	buffer_gl0_inv
	s_cbranch_scc1 .LBB37_26
.LBB37_30:                              ; =>This Inner Loop Header: Depth=1
	s_lshr_b32 s0, s24, 1
	s_mov_b32 s1, exec_lo
	v_cmpx_gt_u32_e64 s0, v0
	s_cbranch_execz .LBB37_29
; %bb.31:                               ;   in Loop: Header=BB37_30 Depth=1
	v_lshl_add_u32 v2, s0, 2, v1
	ds_load_b32 v2, v2
	ds_load_b32 v3, v1
	s_waitcnt lgkmcnt(0)
	v_add_f32_e32 v2, v2, v3
	ds_store_b32 v1, v2
	s_branch .LBB37_29
.LBB37_32:
	s_cbranch_execnz .LBB37_34
; %bb.33:
	; divergent unreachable
	s_cbranch_execz .LBB37_25
	s_branch .LBB37_28
.LBB37_34:
	s_trap 2
	s_sendmsg_rtn_b32 s0, sendmsg(MSG_RTN_GET_DOORBELL)
	s_mov_b32 ttmp2, m0
	s_waitcnt lgkmcnt(0)
	s_and_b32 s0, s0, 0x3ff
	s_delay_alu instid0(SALU_CYCLE_1) | instskip(NEXT) | instid1(SALU_CYCLE_1)
	s_bitset1_b32 s0, 10
	s_mov_b32 m0, s0
	s_sendmsg sendmsg(MSG_INTERRUPT)
	s_mov_b32 m0, ttmp2
.LBB37_35:                              ; =>This Inner Loop Header: Depth=1
	s_sethalt 5
	s_branch .LBB37_35
	.section	.rodata,"a",@progbits
	.p2align	6, 0x0
	.amdhsa_kernel _ZN2at6native12_GLOBAL__N_144conv_depthwise3d_cuda_backward_weight_kernelIffLin1ELin1EEEvN5torch10headeronly6detail27GenericPackedTensorAccessorINS5_14TensorAccessorIN3c108ArrayRefIlEEKT_Lm4ENS4_16DefaultPtrTraitsEiEENS_6detail16IndexBoundsCheckILm5EiEESC_Lm5ESD_iEESI_NS6_INS7_ISA_SB_Lm4ESD_iEESH_SB_Lm5ESD_iEEiiiiiiiii
		.amdhsa_group_segment_fixed_size 0
		.amdhsa_private_segment_fixed_size 0
		.amdhsa_kernarg_size 440
		.amdhsa_user_sgpr_count 15
		.amdhsa_user_sgpr_dispatch_ptr 0
		.amdhsa_user_sgpr_queue_ptr 0
		.amdhsa_user_sgpr_kernarg_segment_ptr 1
		.amdhsa_user_sgpr_dispatch_id 0
		.amdhsa_user_sgpr_private_segment_size 0
		.amdhsa_wavefront_size32 1
		.amdhsa_uses_dynamic_stack 0
		.amdhsa_enable_private_segment 0
		.amdhsa_system_sgpr_workgroup_id_x 1
		.amdhsa_system_sgpr_workgroup_id_y 0
		.amdhsa_system_sgpr_workgroup_id_z 0
		.amdhsa_system_sgpr_workgroup_info 0
		.amdhsa_system_vgpr_workitem_id 0
		.amdhsa_next_free_vgpr 21
		.amdhsa_next_free_sgpr 48
		.amdhsa_reserve_vcc 1
		.amdhsa_float_round_mode_32 0
		.amdhsa_float_round_mode_16_64 0
		.amdhsa_float_denorm_mode_32 3
		.amdhsa_float_denorm_mode_16_64 3
		.amdhsa_dx10_clamp 1
		.amdhsa_ieee_mode 1
		.amdhsa_fp16_overflow 0
		.amdhsa_workgroup_processor_mode 1
		.amdhsa_memory_ordered 1
		.amdhsa_forward_progress 0
		.amdhsa_shared_vgpr_count 0
		.amdhsa_exception_fp_ieee_invalid_op 0
		.amdhsa_exception_fp_denorm_src 0
		.amdhsa_exception_fp_ieee_div_zero 0
		.amdhsa_exception_fp_ieee_overflow 0
		.amdhsa_exception_fp_ieee_underflow 0
		.amdhsa_exception_fp_ieee_inexact 0
		.amdhsa_exception_int_div_zero 0
	.end_amdhsa_kernel
	.section	.text._ZN2at6native12_GLOBAL__N_144conv_depthwise3d_cuda_backward_weight_kernelIffLin1ELin1EEEvN5torch10headeronly6detail27GenericPackedTensorAccessorINS5_14TensorAccessorIN3c108ArrayRefIlEEKT_Lm4ENS4_16DefaultPtrTraitsEiEENS_6detail16IndexBoundsCheckILm5EiEESC_Lm5ESD_iEESI_NS6_INS7_ISA_SB_Lm4ESD_iEESH_SB_Lm5ESD_iEEiiiiiiiii,"axG",@progbits,_ZN2at6native12_GLOBAL__N_144conv_depthwise3d_cuda_backward_weight_kernelIffLin1ELin1EEEvN5torch10headeronly6detail27GenericPackedTensorAccessorINS5_14TensorAccessorIN3c108ArrayRefIlEEKT_Lm4ENS4_16DefaultPtrTraitsEiEENS_6detail16IndexBoundsCheckILm5EiEESC_Lm5ESD_iEESI_NS6_INS7_ISA_SB_Lm4ESD_iEESH_SB_Lm5ESD_iEEiiiiiiiii,comdat
.Lfunc_end37:
	.size	_ZN2at6native12_GLOBAL__N_144conv_depthwise3d_cuda_backward_weight_kernelIffLin1ELin1EEEvN5torch10headeronly6detail27GenericPackedTensorAccessorINS5_14TensorAccessorIN3c108ArrayRefIlEEKT_Lm4ENS4_16DefaultPtrTraitsEiEENS_6detail16IndexBoundsCheckILm5EiEESC_Lm5ESD_iEESI_NS6_INS7_ISA_SB_Lm4ESD_iEESH_SB_Lm5ESD_iEEiiiiiiiii, .Lfunc_end37-_ZN2at6native12_GLOBAL__N_144conv_depthwise3d_cuda_backward_weight_kernelIffLin1ELin1EEEvN5torch10headeronly6detail27GenericPackedTensorAccessorINS5_14TensorAccessorIN3c108ArrayRefIlEEKT_Lm4ENS4_16DefaultPtrTraitsEiEENS_6detail16IndexBoundsCheckILm5EiEESC_Lm5ESD_iEESI_NS6_INS7_ISA_SB_Lm4ESD_iEESH_SB_Lm5ESD_iEEiiiiiiiii
                                        ; -- End function
	.section	.AMDGPU.csdata,"",@progbits
; Kernel info:
; codeLenInByte = 2248
; NumSgprs: 50
; NumVgprs: 21
; ScratchSize: 0
; MemoryBound: 0
; FloatMode: 240
; IeeeMode: 1
; LDSByteSize: 0 bytes/workgroup (compile time only)
; SGPRBlocks: 6
; VGPRBlocks: 2
; NumSGPRsForWavesPerEU: 50
; NumVGPRsForWavesPerEU: 21
; Occupancy: 16
; WaveLimiterHint : 1
; COMPUTE_PGM_RSRC2:SCRATCH_EN: 0
; COMPUTE_PGM_RSRC2:USER_SGPR: 15
; COMPUTE_PGM_RSRC2:TRAP_HANDLER: 0
; COMPUTE_PGM_RSRC2:TGID_X_EN: 1
; COMPUTE_PGM_RSRC2:TGID_Y_EN: 0
; COMPUTE_PGM_RSRC2:TGID_Z_EN: 0
; COMPUTE_PGM_RSRC2:TIDIG_COMP_CNT: 0
	.section	.text._ZN2at6native12_GLOBAL__N_144conv_depthwise3d_cuda_backward_weight_kernelIN3c104HalfEfLi1ELi1EEEvN5torch10headeronly6detail27GenericPackedTensorAccessorINS7_14TensorAccessorINS3_8ArrayRefIlEEKT_Lm4ENS6_16DefaultPtrTraitsEiEENS_6detail16IndexBoundsCheckILm5EiEESD_Lm5ESE_iEESJ_NS8_INS9_ISB_SC_Lm4ESE_iEESI_SC_Lm5ESE_iEEiiiiiiiii,"axG",@progbits,_ZN2at6native12_GLOBAL__N_144conv_depthwise3d_cuda_backward_weight_kernelIN3c104HalfEfLi1ELi1EEEvN5torch10headeronly6detail27GenericPackedTensorAccessorINS7_14TensorAccessorINS3_8ArrayRefIlEEKT_Lm4ENS6_16DefaultPtrTraitsEiEENS_6detail16IndexBoundsCheckILm5EiEESD_Lm5ESE_iEESJ_NS8_INS9_ISB_SC_Lm4ESE_iEESI_SC_Lm5ESE_iEEiiiiiiiii,comdat
	.globl	_ZN2at6native12_GLOBAL__N_144conv_depthwise3d_cuda_backward_weight_kernelIN3c104HalfEfLi1ELi1EEEvN5torch10headeronly6detail27GenericPackedTensorAccessorINS7_14TensorAccessorINS3_8ArrayRefIlEEKT_Lm4ENS6_16DefaultPtrTraitsEiEENS_6detail16IndexBoundsCheckILm5EiEESD_Lm5ESE_iEESJ_NS8_INS9_ISB_SC_Lm4ESE_iEESI_SC_Lm5ESE_iEEiiiiiiiii ; -- Begin function _ZN2at6native12_GLOBAL__N_144conv_depthwise3d_cuda_backward_weight_kernelIN3c104HalfEfLi1ELi1EEEvN5torch10headeronly6detail27GenericPackedTensorAccessorINS7_14TensorAccessorINS3_8ArrayRefIlEEKT_Lm4ENS6_16DefaultPtrTraitsEiEENS_6detail16IndexBoundsCheckILm5EiEESD_Lm5ESE_iEESJ_NS8_INS9_ISB_SC_Lm4ESE_iEESI_SC_Lm5ESE_iEEiiiiiiiii
	.p2align	8
	.type	_ZN2at6native12_GLOBAL__N_144conv_depthwise3d_cuda_backward_weight_kernelIN3c104HalfEfLi1ELi1EEEvN5torch10headeronly6detail27GenericPackedTensorAccessorINS7_14TensorAccessorINS3_8ArrayRefIlEEKT_Lm4ENS6_16DefaultPtrTraitsEiEENS_6detail16IndexBoundsCheckILm5EiEESD_Lm5ESE_iEESJ_NS8_INS9_ISB_SC_Lm4ESE_iEESI_SC_Lm5ESE_iEEiiiiiiiii,@function
_ZN2at6native12_GLOBAL__N_144conv_depthwise3d_cuda_backward_weight_kernelIN3c104HalfEfLi1ELi1EEEvN5torch10headeronly6detail27GenericPackedTensorAccessorINS7_14TensorAccessorINS3_8ArrayRefIlEEKT_Lm4ENS6_16DefaultPtrTraitsEiEENS_6detail16IndexBoundsCheckILm5EiEESD_Lm5ESE_iEESJ_NS8_INS9_ISB_SC_Lm4ESE_iEESI_SC_Lm5ESE_iEEiiiiiiiii: ; @_ZN2at6native12_GLOBAL__N_144conv_depthwise3d_cuda_backward_weight_kernelIN3c104HalfEfLi1ELi1EEEvN5torch10headeronly6detail27GenericPackedTensorAccessorINS7_14TensorAccessorINS3_8ArrayRefIlEEKT_Lm4ENS6_16DefaultPtrTraitsEiEENS_6detail16IndexBoundsCheckILm5EiEESD_Lm5ESE_iEESJ_NS8_INS9_ISB_SC_Lm4ESE_iEESI_SC_Lm5ESE_iEEiiiiiiiii
; %bb.0:
	s_load_b128 s[4:7], s[0:1], 0x70
	s_add_u32 s2, s0, 0x60
	s_addc_u32 s3, s1, 0
	s_clause 0x1
	s_load_b128 s[16:19], s[0:1], 0x3c
	s_load_b128 s[20:23], s[0:1], 0xc
	s_waitcnt lgkmcnt(0)
	v_cvt_f32_u32_e32 v1, s6
	v_cvt_f32_u32_e32 v2, s5
	s_sub_i32 s9, 0, s6
	s_delay_alu instid0(VALU_DEP_2) | instskip(NEXT) | instid1(VALU_DEP_1)
	v_rcp_iflag_f32_e32 v1, v1
	v_rcp_iflag_f32_e32 v2, v2
	s_waitcnt_depctr 0xfff
	v_dual_mul_f32 v1, 0x4f7ffffe, v1 :: v_dual_mul_f32 v2, 0x4f7ffffe, v2
	s_delay_alu instid0(VALU_DEP_1) | instskip(NEXT) | instid1(VALU_DEP_2)
	v_cvt_u32_f32_e32 v1, v1
	v_cvt_u32_f32_e32 v2, v2
	s_delay_alu instid0(VALU_DEP_2) | instskip(SKIP_1) | instid1(VALU_DEP_3)
	v_readfirstlane_b32 s8, v1
	v_cvt_f32_u32_e32 v1, s4
	v_readfirstlane_b32 s13, v2
	s_delay_alu instid0(VALU_DEP_3) | instskip(NEXT) | instid1(VALU_DEP_2)
	s_mul_i32 s9, s9, s8
	v_rcp_iflag_f32_e32 v1, v1
	s_mul_hi_u32 s9, s8, s9
	s_delay_alu instid0(SALU_CYCLE_1) | instskip(NEXT) | instid1(SALU_CYCLE_1)
	s_add_i32 s8, s8, s9
	s_mul_hi_u32 s8, s15, s8
	s_delay_alu instid0(SALU_CYCLE_1)
	s_mul_i32 s9, s8, s6
	s_add_i32 s10, s8, 1
	s_sub_i32 s9, s15, s9
	s_waitcnt_depctr 0xfff
	v_mul_f32_e32 v1, 0x4f7ffffe, v1
	s_sub_i32 s11, s9, s6
	s_cmp_ge_u32 s9, s6
	s_cselect_b32 s8, s10, s8
	s_cselect_b32 s9, s11, s9
	s_add_i32 s10, s8, 1
	s_cmp_ge_u32 s9, s6
	v_cvt_u32_f32_e32 v1, v1
	s_cselect_b32 s12, s10, s8
	s_sub_i32 s8, 0, s5
	s_delay_alu instid0(SALU_CYCLE_1) | instskip(NEXT) | instid1(VALU_DEP_1)
	s_mul_i32 s8, s8, s13
	v_readfirstlane_b32 s14, v1
	s_mul_hi_u32 s8, s13, s8
	s_delay_alu instid0(SALU_CYCLE_1) | instskip(NEXT) | instid1(SALU_CYCLE_1)
	s_add_i32 s13, s13, s8
	s_mul_hi_u32 s8, s12, s13
	s_delay_alu instid0(SALU_CYCLE_1) | instskip(SKIP_2) | instid1(SALU_CYCLE_1)
	s_mul_i32 s9, s8, s5
	s_add_i32 s10, s8, 1
	s_sub_i32 s9, s12, s9
	s_sub_i32 s11, s9, s5
	s_cmp_ge_u32 s9, s5
	s_cselect_b32 s8, s10, s8
	s_cselect_b32 s9, s11, s9
	s_add_i32 s10, s8, 1
	s_cmp_ge_u32 s9, s5
	s_cselect_b32 s13, s10, s8
	s_sub_i32 s8, 0, s4
	s_delay_alu instid0(SALU_CYCLE_1) | instskip(NEXT) | instid1(SALU_CYCLE_1)
	s_mul_i32 s8, s8, s14
	s_mul_hi_u32 s8, s14, s8
	s_delay_alu instid0(SALU_CYCLE_1) | instskip(NEXT) | instid1(SALU_CYCLE_1)
	s_add_i32 s14, s14, s8
	s_mul_hi_u32 s8, s13, s14
	s_delay_alu instid0(SALU_CYCLE_1) | instskip(SKIP_2) | instid1(SALU_CYCLE_1)
	s_mul_i32 s9, s8, s4
	s_add_i32 s10, s8, 1
	s_sub_i32 s9, s13, s9
	s_sub_i32 s11, s9, s4
	s_cmp_ge_u32 s9, s4
	s_cselect_b32 s8, s10, s8
	s_cselect_b32 s9, s11, s9
	s_add_i32 s10, s8, 1
	s_cmp_ge_u32 s9, s4
	s_cselect_b32 s33, s10, s8
	s_abs_i32 s8, s16
	s_abs_i32 s11, s20
	v_cvt_f32_u32_e32 v1, s8
	s_sub_i32 s10, 0, s8
	s_delay_alu instid0(VALU_DEP_1) | instskip(SKIP_2) | instid1(VALU_DEP_1)
	v_rcp_iflag_f32_e32 v1, v1
	s_waitcnt_depctr 0xfff
	v_mul_f32_e32 v1, 0x4f7ffffe, v1
	v_cvt_u32_f32_e32 v1, v1
	s_delay_alu instid0(VALU_DEP_1) | instskip(NEXT) | instid1(VALU_DEP_1)
	v_readfirstlane_b32 s9, v1
	s_mul_i32 s10, s10, s9
	s_delay_alu instid0(SALU_CYCLE_1) | instskip(NEXT) | instid1(SALU_CYCLE_1)
	s_mul_hi_u32 s10, s9, s10
	s_add_i32 s9, s9, s10
	s_xor_b32 s10, s20, s16
	s_mul_hi_u32 s9, s11, s9
	s_ashr_i32 s10, s10, 31
	s_mul_i32 s14, s9, s8
	s_delay_alu instid0(SALU_CYCLE_1)
	s_sub_i32 s11, s11, s14
	s_add_i32 s14, s9, 1
	s_sub_i32 s16, s11, s8
	s_cmp_ge_u32 s11, s8
	s_cselect_b32 s9, s14, s9
	s_cselect_b32 s11, s16, s11
	s_add_i32 s14, s9, 1
	s_cmp_ge_u32 s11, s8
	s_cselect_b32 s8, s14, s9
	s_delay_alu instid0(SALU_CYCLE_1) | instskip(NEXT) | instid1(SALU_CYCLE_1)
	s_xor_b32 s8, s8, s10
	s_sub_i32 s14, s8, s10
	s_load_b32 s8, s[0:1], 0x68
	s_abs_i32 s38, s14
	s_delay_alu instid0(SALU_CYCLE_1) | instskip(NEXT) | instid1(VALU_DEP_1)
	v_cvt_f32_u32_e32 v1, s38
	v_rcp_iflag_f32_e32 v1, v1
	s_waitcnt_depctr 0xfff
	v_mul_f32_e32 v1, 0x4f7ffffe, v1
	s_waitcnt lgkmcnt(0)
	s_cmp_ge_i32 s33, s8
	s_delay_alu instid0(VALU_DEP_1) | instskip(NEXT) | instid1(VALU_DEP_1)
	v_cvt_u32_f32_e32 v1, v1
	v_readfirstlane_b32 s24, v1
	s_cbranch_scc1 .LBB38_28
; %bb.1:
	s_clause 0x1
	s_load_b32 s20, s[0:1], 0x38
	s_load_b32 s16, s[0:1], 0xc4
	s_clause 0x1
	s_load_b64 s[34:35], s[2:3], 0x0
	s_load_b128 s[8:11], s[2:3], 0x24
	v_lshrrev_b32_e32 v4, 5, v0
	v_mov_b32_e32 v2, 0
	s_mul_i32 s2, s12, s6
	s_mul_i32 s5, s13, s5
	;; [unrolled: 1-line block ×3, first 2 shown]
	s_sub_i32 s3, s15, s2
	s_sub_i32 s5, s12, s5
	s_sub_i32 s6, s13, s4
	s_mov_b32 s36, exec_lo
	s_waitcnt lgkmcnt(0)
	s_mul_i32 s20, s20, s21
	s_and_b32 s16, s16, 0xffff
	v_cmpx_gt_i32_e64 s20, v4
	s_cbranch_execz .LBB38_23
; %bb.2:
	s_sub_i32 s2, 0, s38
	s_abs_i32 s26, s33
	s_mul_i32 s2, s2, s24
	s_ashr_i32 s25, s14, 31
	s_mul_hi_u32 s2, s24, s2
	s_clause 0x2
	s_load_b128 s[28:31], s[0:1], 0x9c
	s_load_b64 s[40:41], s[0:1], 0x0
	s_load_b128 s[12:15], s[0:1], 0x1c
	s_add_i32 s24, s24, s2
	s_ashr_i32 s4, s33, 31
	s_mul_hi_u32 s2, s26, s24
	s_lshr_b32 s37, s16, 5
	s_waitcnt lgkmcnt(0)
	s_mul_i32 s15, s2, s38
	s_xor_b32 s4, s4, s25
	s_sub_i32 s15, s26, s15
	s_add_i32 s39, s2, 1
	s_sub_i32 s42, s15, s38
	s_load_b128 s[24:27], s[0:1], 0x4c
	s_cmp_ge_u32 s15, s38
	v_mov_b32_e32 v10, 0
	s_cselect_b32 s2, s39, s2
	s_cselect_b32 s15, s42, s15
	s_waitcnt lgkmcnt(0)
	s_add_i32 s27, s2, 1
	s_cmp_ge_u32 s15, s38
	s_clause 0x1
	s_load_b64 s[38:39], s[0:1], 0x30
	s_load_b64 s[42:43], s[0:1], 0xac
	s_cselect_b32 s2, s27, s2
	s_mul_i32 s0, s13, s33
	s_xor_b32 s2, s2, s4
	s_ashr_i32 s1, s0, 31
	s_sub_i32 s2, s2, s4
	s_abs_i32 s45, s21
	s_mul_i32 s4, s6, s31
	s_lshl_b64 s[0:1], s[0:1], 1
	s_ashr_i32 s44, s21, 31
	s_sub_i32 s46, 0, s45
	s_sub_i32 s4, s4, s28
	s_add_u32 s13, s40, s0
	s_mul_i32 s0, s25, s2
	s_addc_u32 s15, s41, s1
	s_ashr_i32 s1, s0, 31
	v_cvt_f32_u32_e32 v1, s45
	s_lshl_b64 s[0:1], s[0:1], 1
	s_mov_b32 s28, 0
	s_waitcnt lgkmcnt(0)
	s_add_u32 s25, s38, s0
	s_addc_u32 s27, s39, s1
	s_abs_i32 s1, s23
	v_rcp_iflag_f32_e32 v1, v1
	v_cvt_f32_u32_e32 v2, s1
	s_sub_i32 s0, 0, s1
	s_delay_alu instid0(VALU_DEP_1) | instskip(SKIP_2) | instid1(VALU_DEP_1)
	v_rcp_iflag_f32_e32 v2, v2
	s_waitcnt_depctr 0xfff
	v_dual_mul_f32 v1, 0x4f7ffffe, v1 :: v_dual_mul_f32 v2, 0x4f7ffffe, v2
	v_cvt_u32_f32_e32 v1, v1
	s_delay_alu instid0(VALU_DEP_2) | instskip(NEXT) | instid1(VALU_DEP_2)
	v_cvt_u32_f32_e32 v2, v2
	v_mul_lo_u32 v3, s46, v1
	s_delay_alu instid0(VALU_DEP_2) | instskip(NEXT) | instid1(VALU_DEP_2)
	v_mul_lo_u32 v5, s0, v2
	v_mul_hi_u32 v3, v1, v3
	s_delay_alu instid0(VALU_DEP_2) | instskip(NEXT) | instid1(VALU_DEP_2)
	v_mul_hi_u32 v5, v2, v5
	v_add_nc_u32_e32 v1, v1, v3
	v_and_b32_e32 v3, 31, v0
	s_delay_alu instid0(VALU_DEP_2) | instskip(NEXT) | instid1(VALU_DEP_1)
	v_mul_hi_u32 v1, v4, v1
	v_add_nc_u32_e32 v7, 1, v1
	v_add_nc_u32_e32 v2, v2, v5
	v_mul_lo_u32 v5, v1, s45
	s_delay_alu instid0(VALU_DEP_1) | instskip(NEXT) | instid1(VALU_DEP_1)
	v_sub_nc_u32_e32 v5, v4, v5
	v_cmp_le_u32_e32 vcc_lo, s45, v5
	v_cndmask_b32_e32 v1, v1, v7, vcc_lo
	v_mul_hi_u32 v2, v3, v2
	v_subrev_nc_u32_e32 v7, s45, v5
	s_delay_alu instid0(VALU_DEP_1) | instskip(NEXT) | instid1(VALU_DEP_4)
	v_cndmask_b32_e32 v5, v5, v7, vcc_lo
	v_add_nc_u32_e32 v7, 1, v1
	s_delay_alu instid0(VALU_DEP_4) | instskip(SKIP_1) | instid1(VALU_DEP_4)
	v_mul_lo_u32 v6, v2, s1
	v_add_nc_u32_e32 v8, 1, v2
	v_cmp_le_u32_e32 vcc_lo, s45, v5
	s_delay_alu instid0(VALU_DEP_3) | instskip(SKIP_2) | instid1(VALU_DEP_3)
	v_sub_nc_u32_e32 v6, v3, v6
	v_cndmask_b32_e32 v1, v1, v7, vcc_lo
	v_mov_b32_e32 v7, 0
	v_subrev_nc_u32_e32 v9, s1, v6
	v_cmp_le_u32_e64 s0, s1, v6
	s_delay_alu instid0(VALU_DEP_4) | instskip(NEXT) | instid1(VALU_DEP_2)
	v_xor_b32_e32 v1, s44, v1
	v_cndmask_b32_e64 v2, v2, v8, s0
	s_delay_alu instid0(VALU_DEP_4) | instskip(SKIP_1) | instid1(VALU_DEP_3)
	v_cndmask_b32_e64 v6, v6, v9, s0
	s_ashr_i32 s0, s23, 31
	v_subrev_nc_u32_e32 v5, s44, v1
	s_delay_alu instid0(VALU_DEP_3) | instskip(NEXT) | instid1(VALU_DEP_3)
	v_add_nc_u32_e32 v8, 1, v2
	v_cmp_le_u32_e32 vcc_lo, s1, v6
	s_mul_i32 s1, s5, s42
	s_delay_alu instid0(VALU_DEP_3) | instskip(SKIP_3) | instid1(VALU_DEP_2)
	v_mul_lo_u32 v1, v5, s21
	s_sub_i32 s29, s1, s29
	v_cndmask_b32_e32 v2, v2, v8, vcc_lo
	v_lshlrev_b32_e32 v8, 1, v3
	v_xor_b32_e32 v2, s0, v2
	s_delay_alu instid0(VALU_DEP_4) | instskip(NEXT) | instid1(VALU_DEP_2)
	v_sub_nc_u32_e32 v9, v4, v1
	v_subrev_nc_u32_e32 v6, s0, v2
	s_mul_i32 s0, s3, s43
	s_delay_alu instid0(SALU_CYCLE_1) | instskip(NEXT) | instid1(VALU_DEP_1)
	s_sub_i32 s30, s0, s30
	v_mul_lo_u32 v2, v6, s23
	v_cmp_gt_i32_e32 vcc_lo, s22, v6
	s_delay_alu instid0(VALU_DEP_2)
	v_sub_nc_u32_e32 v11, v3, v2
	s_branch .LBB38_6
.LBB38_3:                               ;   in Loop: Header=BB38_6 Depth=1
	s_or_b32 exec_lo, exec_lo, s39
.LBB38_4:                               ;   in Loop: Header=BB38_6 Depth=1
	s_delay_alu instid0(SALU_CYCLE_1)
	s_or_b32 exec_lo, exec_lo, s38
.LBB38_5:                               ;   in Loop: Header=BB38_6 Depth=1
	s_delay_alu instid0(SALU_CYCLE_1) | instskip(SKIP_2) | instid1(VALU_DEP_2)
	s_or_b32 exec_lo, exec_lo, s31
	v_add_nc_u32_e32 v4, s37, v4
	v_add_nc_u32_e32 v9, s37, v9
	v_cmp_le_i32_e64 s0, s20, v4
	s_delay_alu instid0(VALU_DEP_1) | instskip(NEXT) | instid1(SALU_CYCLE_1)
	s_or_b32 s28, s0, s28
	s_and_not1_b32 exec_lo, exec_lo, s28
	s_cbranch_execz .LBB38_22
.LBB38_6:                               ; =>This Loop Header: Depth=1
                                        ;     Child Loop BB38_8 Depth 2
                                        ;     Child Loop BB38_14 Depth 2
                                        ;       Child Loop BB38_20 Depth 3
	s_mov_b32 s1, exec_lo
	v_cmpx_le_i32_e64 s21, v9
	s_cbranch_execz .LBB38_10
; %bb.7:                                ;   in Loop: Header=BB38_6 Depth=1
	s_mov_b32 s2, 0
.LBB38_8:                               ;   Parent Loop BB38_6 Depth=1
                                        ; =>  This Inner Loop Header: Depth=2
	v_subrev_nc_u32_e32 v9, s21, v9
	v_add_nc_u32_e32 v5, 1, v5
	s_delay_alu instid0(VALU_DEP_2) | instskip(NEXT) | instid1(VALU_DEP_1)
	v_cmp_gt_i32_e64 s0, s21, v9
	s_or_b32 s2, s0, s2
	s_delay_alu instid0(SALU_CYCLE_1)
	s_and_not1_b32 exec_lo, exec_lo, s2
	s_cbranch_execnz .LBB38_8
; %bb.9:                                ;   in Loop: Header=BB38_6 Depth=1
	s_or_b32 exec_lo, exec_lo, s2
.LBB38_10:                              ;   in Loop: Header=BB38_6 Depth=1
	s_delay_alu instid0(SALU_CYCLE_1) | instskip(SKIP_1) | instid1(VALU_DEP_1)
	s_or_b32 exec_lo, exec_lo, s1
	v_mad_u64_u32 v[1:2], null, v9, s11, s[4:5]
	v_cmp_lt_i32_e64 s0, -1, v1
	v_cmp_gt_i32_e64 s1, s17, v1
	s_delay_alu instid0(VALU_DEP_1) | instskip(NEXT) | instid1(SALU_CYCLE_1)
	s_and_b32 s0, s0, s1
	s_and_saveexec_b32 s31, s0
	s_cbranch_execz .LBB38_5
; %bb.11:                               ;   in Loop: Header=BB38_6 Depth=1
	s_and_saveexec_b32 s38, vcc_lo
	s_cbranch_execz .LBB38_4
; %bb.12:                               ;   in Loop: Header=BB38_6 Depth=1
	v_mul_lo_u32 v2, s12, v5
	v_mul_lo_u32 v12, s24, v5
	;; [unrolled: 1-line block ×4, first 2 shown]
	s_mov_b32 s39, 0
	s_delay_alu instid0(VALU_DEP_4) | instskip(NEXT) | instid1(VALU_DEP_4)
	v_ashrrev_i32_e32 v3, 31, v2
	v_ashrrev_i32_e32 v13, 31, v12
	s_delay_alu instid0(VALU_DEP_4) | instskip(NEXT) | instid1(VALU_DEP_4)
	v_ashrrev_i32_e32 v17, 31, v16
	v_ashrrev_i32_e32 v15, 31, v14
	s_delay_alu instid0(VALU_DEP_4) | instskip(NEXT) | instid1(VALU_DEP_4)
	v_lshlrev_b64 v[1:2], 1, v[2:3]
	v_lshlrev_b64 v[12:13], 1, v[12:13]
	s_delay_alu instid0(VALU_DEP_4) | instskip(NEXT) | instid1(VALU_DEP_4)
	v_lshlrev_b64 v[16:17], 1, v[16:17]
	v_lshlrev_b64 v[14:15], 1, v[14:15]
	s_delay_alu instid0(VALU_DEP_4) | instskip(NEXT) | instid1(VALU_DEP_1)
	v_add_co_u32 v1, s0, s13, v1
	v_add_co_ci_u32_e64 v2, s0, s15, v2, s0
	v_add_co_u32 v3, s0, s25, v12
	s_delay_alu instid0(VALU_DEP_1) | instskip(NEXT) | instid1(VALU_DEP_4)
	v_add_co_ci_u32_e64 v13, s0, s27, v13, s0
	v_add_co_u32 v1, s0, v1, v16
	s_delay_alu instid0(VALU_DEP_1) | instskip(NEXT) | instid1(VALU_DEP_4)
	;; [unrolled: 3-line block ×3, first 2 shown]
	v_add_co_ci_u32_e64 v13, s0, v13, v15, s0
	v_add_co_u32 v1, s0, v1, v8
	s_delay_alu instid0(VALU_DEP_1)
	v_add_co_ci_u32_e64 v2, s0, 0, v2, s0
	v_dual_mov_b32 v14, v11 :: v_dual_mov_b32 v15, v6
	s_branch .LBB38_14
.LBB38_13:                              ;   in Loop: Header=BB38_14 Depth=2
	s_or_b32 exec_lo, exec_lo, s1
	v_cmp_le_i32_e64 s0, s22, v15
	v_add_co_u32 v1, s1, v1, 64
	s_delay_alu instid0(VALU_DEP_1) | instskip(SKIP_3) | instid1(SALU_CYCLE_1)
	v_add_co_ci_u32_e64 v2, s1, 0, v2, s1
	s_waitcnt vmcnt(0)
	v_fma_mix_f32 v10, v17, v16, v10 op_sel_hi:[0,1,0]
	s_or_b32 s39, s0, s39
	s_and_not1_b32 exec_lo, exec_lo, s39
	s_cbranch_execz .LBB38_3
.LBB38_14:                              ;   Parent Loop BB38_6 Depth=1
                                        ; =>  This Loop Header: Depth=2
                                        ;       Child Loop BB38_20 Depth 3
	global_load_u16 v16, v[1:2], off
	v_add_nc_u32_e32 v3, s30, v14
	v_mov_b32_e32 v17, 0
	s_mov_b32 s40, exec_lo
	s_delay_alu instid0(VALU_DEP_2)
	v_cmpx_lt_i32_e32 -1, v3
	s_cbranch_execz .LBB38_18
; %bb.15:                               ;   in Loop: Header=BB38_14 Depth=2
	v_dual_mov_b32 v17, 0 :: v_dual_add_nc_u32 v18, s29, v15
	v_cmp_gt_i32_e64 s0, s19, v3
	s_delay_alu instid0(VALU_DEP_2) | instskip(SKIP_1) | instid1(VALU_DEP_2)
	v_cmp_gt_i32_e64 s1, s18, v18
	v_cmp_lt_i32_e64 s2, -1, v18
	s_and_b32 s0, s0, s1
	s_delay_alu instid0(VALU_DEP_1) | instid1(SALU_CYCLE_1)
	s_and_b32 s0, s0, s2
	s_delay_alu instid0(SALU_CYCLE_1)
	s_and_saveexec_b32 s1, s0
	s_cbranch_execz .LBB38_17
; %bb.16:                               ;   in Loop: Header=BB38_14 Depth=2
	v_mad_u64_u32 v[19:20], null, v18, s19, v[3:4]
	v_mov_b32_e32 v20, v7
	s_delay_alu instid0(VALU_DEP_1) | instskip(NEXT) | instid1(VALU_DEP_1)
	v_lshlrev_b64 v[17:18], 1, v[19:20]
	v_add_co_u32 v17, s0, v12, v17
	s_delay_alu instid0(VALU_DEP_1)
	v_add_co_ci_u32_e64 v18, s0, v13, v18, s0
	global_load_u16 v3, v[17:18], off
	s_waitcnt vmcnt(0)
	v_cvt_f32_f16_e32 v17, v3
.LBB38_17:                              ;   in Loop: Header=BB38_14 Depth=2
	s_or_b32 exec_lo, exec_lo, s1
.LBB38_18:                              ;   in Loop: Header=BB38_14 Depth=2
	s_delay_alu instid0(SALU_CYCLE_1) | instskip(SKIP_2) | instid1(VALU_DEP_1)
	s_or_b32 exec_lo, exec_lo, s40
	v_add_nc_u32_e32 v14, 32, v14
	s_mov_b32 s1, exec_lo
	v_cmpx_le_i32_e64 s23, v14
	s_cbranch_execz .LBB38_13
; %bb.19:                               ;   in Loop: Header=BB38_14 Depth=2
	s_mov_b32 s2, 0
.LBB38_20:                              ;   Parent Loop BB38_6 Depth=1
                                        ;     Parent Loop BB38_14 Depth=2
                                        ; =>    This Inner Loop Header: Depth=3
	v_subrev_nc_u32_e32 v14, s23, v14
	v_add_nc_u32_e32 v15, 1, v15
	s_delay_alu instid0(VALU_DEP_2) | instskip(NEXT) | instid1(VALU_DEP_1)
	v_cmp_gt_i32_e64 s0, s23, v14
	s_or_b32 s2, s0, s2
	s_delay_alu instid0(SALU_CYCLE_1)
	s_and_not1_b32 exec_lo, exec_lo, s2
	s_cbranch_execnz .LBB38_20
; %bb.21:                               ;   in Loop: Header=BB38_14 Depth=2
	s_or_b32 exec_lo, exec_lo, s2
	s_branch .LBB38_13
.LBB38_22:
	s_or_b32 exec_lo, exec_lo, s28
	v_cvt_f16_f32_e32 v2, v10
.LBB38_23:
	s_or_b32 exec_lo, exec_lo, s36
	v_lshl_add_u32 v1, v0, 1, 0
	s_bcnt1_i32_b32 s0, s16
	s_delay_alu instid0(SALU_CYCLE_1)
	s_cmp_lg_u32 s0, 1
	s_mov_b32 s0, -1
	ds_store_b16 v1, v2
	s_waitcnt lgkmcnt(0)
	s_barrier
	buffer_gl0_inv
	s_cbranch_scc1 .LBB38_32
; %bb.24:
	s_and_not1_b32 vcc_lo, exec_lo, s0
	s_cbranch_vccnz .LBB38_28
.LBB38_25:
	s_cmp_lt_u32 s16, 2
	s_cbranch_scc0 .LBB38_30
.LBB38_26:
	s_mov_b32 s0, exec_lo
	v_cmpx_eq_u32_e32 0, v0
	s_cbranch_execz .LBB38_28
; %bb.27:
	s_mul_i32 s0, s7, s33
	v_mov_b32_e32 v0, 0
	s_ashr_i32 s1, s0, 31
	s_mul_i32 s6, s8, s6
	s_lshl_b64 s[0:1], s[0:1], 1
	s_mul_i32 s4, s9, s5
	ds_load_u16 v1, v0
	s_add_u32 s2, s34, s0
	s_addc_u32 s8, s35, s1
	s_ashr_i32 s7, s6, 31
	s_delay_alu instid0(SALU_CYCLE_1) | instskip(NEXT) | instid1(SALU_CYCLE_1)
	s_lshl_b64 s[0:1], s[6:7], 1
	s_add_u32 s2, s2, s0
	s_addc_u32 s6, s8, s1
	s_ashr_i32 s5, s4, 31
	s_delay_alu instid0(SALU_CYCLE_1) | instskip(NEXT) | instid1(SALU_CYCLE_1)
	s_lshl_b64 s[0:1], s[4:5], 1
	s_add_u32 s2, s2, s0
	s_mul_i32 s0, s10, s3
	s_addc_u32 s3, s6, s1
	s_ashr_i32 s1, s0, 31
	s_delay_alu instid0(SALU_CYCLE_1) | instskip(NEXT) | instid1(SALU_CYCLE_1)
	s_lshl_b64 s[0:1], s[0:1], 1
	s_add_u32 s0, s2, s0
	s_addc_u32 s1, s3, s1
	s_waitcnt lgkmcnt(0)
	global_store_b16 v0, v1, s[0:1]
.LBB38_28:
	s_nop 0
	s_sendmsg sendmsg(MSG_DEALLOC_VGPRS)
	s_endpgm
	.p2align	6
.LBB38_29:                              ;   in Loop: Header=BB38_30 Depth=1
	s_or_b32 exec_lo, exec_lo, s1
	s_cmp_lt_u32 s16, 4
	s_mov_b32 s16, s0
	s_waitcnt lgkmcnt(0)
	s_barrier
	buffer_gl0_inv
	s_cbranch_scc1 .LBB38_26
.LBB38_30:                              ; =>This Inner Loop Header: Depth=1
	s_lshr_b32 s0, s16, 1
	s_mov_b32 s1, exec_lo
	v_cmpx_gt_u32_e64 s0, v0
	s_cbranch_execz .LBB38_29
; %bb.31:                               ;   in Loop: Header=BB38_30 Depth=1
	v_lshl_add_u32 v2, s0, 1, v1
	ds_load_u16 v2, v2
	ds_load_u16 v3, v1
	s_waitcnt lgkmcnt(0)
	v_add_f16_e32 v2, v2, v3
	ds_store_b16 v1, v2
	s_branch .LBB38_29
.LBB38_32:
	s_cbranch_execnz .LBB38_34
; %bb.33:
	; divergent unreachable
	s_cbranch_execz .LBB38_25
	s_branch .LBB38_28
.LBB38_34:
	s_trap 2
	s_sendmsg_rtn_b32 s0, sendmsg(MSG_RTN_GET_DOORBELL)
	s_mov_b32 ttmp2, m0
	s_waitcnt lgkmcnt(0)
	s_and_b32 s0, s0, 0x3ff
	s_delay_alu instid0(SALU_CYCLE_1) | instskip(NEXT) | instid1(SALU_CYCLE_1)
	s_bitset1_b32 s0, 10
	s_mov_b32 m0, s0
	s_sendmsg sendmsg(MSG_INTERRUPT)
	s_mov_b32 m0, ttmp2
.LBB38_35:                              ; =>This Inner Loop Header: Depth=1
	s_sethalt 5
	s_branch .LBB38_35
	.section	.rodata,"a",@progbits
	.p2align	6, 0x0
	.amdhsa_kernel _ZN2at6native12_GLOBAL__N_144conv_depthwise3d_cuda_backward_weight_kernelIN3c104HalfEfLi1ELi1EEEvN5torch10headeronly6detail27GenericPackedTensorAccessorINS7_14TensorAccessorINS3_8ArrayRefIlEEKT_Lm4ENS6_16DefaultPtrTraitsEiEENS_6detail16IndexBoundsCheckILm5EiEESD_Lm5ESE_iEESJ_NS8_INS9_ISB_SC_Lm4ESE_iEESI_SC_Lm5ESE_iEEiiiiiiiii
		.amdhsa_group_segment_fixed_size 0
		.amdhsa_private_segment_fixed_size 0
		.amdhsa_kernarg_size 440
		.amdhsa_user_sgpr_count 15
		.amdhsa_user_sgpr_dispatch_ptr 0
		.amdhsa_user_sgpr_queue_ptr 0
		.amdhsa_user_sgpr_kernarg_segment_ptr 1
		.amdhsa_user_sgpr_dispatch_id 0
		.amdhsa_user_sgpr_private_segment_size 0
		.amdhsa_wavefront_size32 1
		.amdhsa_uses_dynamic_stack 0
		.amdhsa_enable_private_segment 0
		.amdhsa_system_sgpr_workgroup_id_x 1
		.amdhsa_system_sgpr_workgroup_id_y 0
		.amdhsa_system_sgpr_workgroup_id_z 0
		.amdhsa_system_sgpr_workgroup_info 0
		.amdhsa_system_vgpr_workitem_id 0
		.amdhsa_next_free_vgpr 21
		.amdhsa_next_free_sgpr 47
		.amdhsa_reserve_vcc 1
		.amdhsa_float_round_mode_32 0
		.amdhsa_float_round_mode_16_64 0
		.amdhsa_float_denorm_mode_32 3
		.amdhsa_float_denorm_mode_16_64 3
		.amdhsa_dx10_clamp 1
		.amdhsa_ieee_mode 1
		.amdhsa_fp16_overflow 0
		.amdhsa_workgroup_processor_mode 1
		.amdhsa_memory_ordered 1
		.amdhsa_forward_progress 0
		.amdhsa_shared_vgpr_count 0
		.amdhsa_exception_fp_ieee_invalid_op 0
		.amdhsa_exception_fp_denorm_src 0
		.amdhsa_exception_fp_ieee_div_zero 0
		.amdhsa_exception_fp_ieee_overflow 0
		.amdhsa_exception_fp_ieee_underflow 0
		.amdhsa_exception_fp_ieee_inexact 0
		.amdhsa_exception_int_div_zero 0
	.end_amdhsa_kernel
	.section	.text._ZN2at6native12_GLOBAL__N_144conv_depthwise3d_cuda_backward_weight_kernelIN3c104HalfEfLi1ELi1EEEvN5torch10headeronly6detail27GenericPackedTensorAccessorINS7_14TensorAccessorINS3_8ArrayRefIlEEKT_Lm4ENS6_16DefaultPtrTraitsEiEENS_6detail16IndexBoundsCheckILm5EiEESD_Lm5ESE_iEESJ_NS8_INS9_ISB_SC_Lm4ESE_iEESI_SC_Lm5ESE_iEEiiiiiiiii,"axG",@progbits,_ZN2at6native12_GLOBAL__N_144conv_depthwise3d_cuda_backward_weight_kernelIN3c104HalfEfLi1ELi1EEEvN5torch10headeronly6detail27GenericPackedTensorAccessorINS7_14TensorAccessorINS3_8ArrayRefIlEEKT_Lm4ENS6_16DefaultPtrTraitsEiEENS_6detail16IndexBoundsCheckILm5EiEESD_Lm5ESE_iEESJ_NS8_INS9_ISB_SC_Lm4ESE_iEESI_SC_Lm5ESE_iEEiiiiiiiii,comdat
.Lfunc_end38:
	.size	_ZN2at6native12_GLOBAL__N_144conv_depthwise3d_cuda_backward_weight_kernelIN3c104HalfEfLi1ELi1EEEvN5torch10headeronly6detail27GenericPackedTensorAccessorINS7_14TensorAccessorINS3_8ArrayRefIlEEKT_Lm4ENS6_16DefaultPtrTraitsEiEENS_6detail16IndexBoundsCheckILm5EiEESD_Lm5ESE_iEESJ_NS8_INS9_ISB_SC_Lm4ESE_iEESI_SC_Lm5ESE_iEEiiiiiiiii, .Lfunc_end38-_ZN2at6native12_GLOBAL__N_144conv_depthwise3d_cuda_backward_weight_kernelIN3c104HalfEfLi1ELi1EEEvN5torch10headeronly6detail27GenericPackedTensorAccessorINS7_14TensorAccessorINS3_8ArrayRefIlEEKT_Lm4ENS6_16DefaultPtrTraitsEiEENS_6detail16IndexBoundsCheckILm5EiEESD_Lm5ESE_iEESJ_NS8_INS9_ISB_SC_Lm4ESE_iEESI_SC_Lm5ESE_iEEiiiiiiiii
                                        ; -- End function
	.section	.AMDGPU.csdata,"",@progbits
; Kernel info:
; codeLenInByte = 2264
; NumSgprs: 49
; NumVgprs: 21
; ScratchSize: 0
; MemoryBound: 0
; FloatMode: 240
; IeeeMode: 1
; LDSByteSize: 0 bytes/workgroup (compile time only)
; SGPRBlocks: 6
; VGPRBlocks: 2
; NumSGPRsForWavesPerEU: 49
; NumVGPRsForWavesPerEU: 21
; Occupancy: 16
; WaveLimiterHint : 1
; COMPUTE_PGM_RSRC2:SCRATCH_EN: 0
; COMPUTE_PGM_RSRC2:USER_SGPR: 15
; COMPUTE_PGM_RSRC2:TRAP_HANDLER: 0
; COMPUTE_PGM_RSRC2:TGID_X_EN: 1
; COMPUTE_PGM_RSRC2:TGID_Y_EN: 0
; COMPUTE_PGM_RSRC2:TGID_Z_EN: 0
; COMPUTE_PGM_RSRC2:TIDIG_COMP_CNT: 0
	.section	.text._ZN2at6native12_GLOBAL__N_144conv_depthwise3d_cuda_backward_weight_kernelIN3c104HalfEfLi2ELi2EEEvN5torch10headeronly6detail27GenericPackedTensorAccessorINS7_14TensorAccessorINS3_8ArrayRefIlEEKT_Lm4ENS6_16DefaultPtrTraitsEiEENS_6detail16IndexBoundsCheckILm5EiEESD_Lm5ESE_iEESJ_NS8_INS9_ISB_SC_Lm4ESE_iEESI_SC_Lm5ESE_iEEiiiiiiiii,"axG",@progbits,_ZN2at6native12_GLOBAL__N_144conv_depthwise3d_cuda_backward_weight_kernelIN3c104HalfEfLi2ELi2EEEvN5torch10headeronly6detail27GenericPackedTensorAccessorINS7_14TensorAccessorINS3_8ArrayRefIlEEKT_Lm4ENS6_16DefaultPtrTraitsEiEENS_6detail16IndexBoundsCheckILm5EiEESD_Lm5ESE_iEESJ_NS8_INS9_ISB_SC_Lm4ESE_iEESI_SC_Lm5ESE_iEEiiiiiiiii,comdat
	.globl	_ZN2at6native12_GLOBAL__N_144conv_depthwise3d_cuda_backward_weight_kernelIN3c104HalfEfLi2ELi2EEEvN5torch10headeronly6detail27GenericPackedTensorAccessorINS7_14TensorAccessorINS3_8ArrayRefIlEEKT_Lm4ENS6_16DefaultPtrTraitsEiEENS_6detail16IndexBoundsCheckILm5EiEESD_Lm5ESE_iEESJ_NS8_INS9_ISB_SC_Lm4ESE_iEESI_SC_Lm5ESE_iEEiiiiiiiii ; -- Begin function _ZN2at6native12_GLOBAL__N_144conv_depthwise3d_cuda_backward_weight_kernelIN3c104HalfEfLi2ELi2EEEvN5torch10headeronly6detail27GenericPackedTensorAccessorINS7_14TensorAccessorINS3_8ArrayRefIlEEKT_Lm4ENS6_16DefaultPtrTraitsEiEENS_6detail16IndexBoundsCheckILm5EiEESD_Lm5ESE_iEESJ_NS8_INS9_ISB_SC_Lm4ESE_iEESI_SC_Lm5ESE_iEEiiiiiiiii
	.p2align	8
	.type	_ZN2at6native12_GLOBAL__N_144conv_depthwise3d_cuda_backward_weight_kernelIN3c104HalfEfLi2ELi2EEEvN5torch10headeronly6detail27GenericPackedTensorAccessorINS7_14TensorAccessorINS3_8ArrayRefIlEEKT_Lm4ENS6_16DefaultPtrTraitsEiEENS_6detail16IndexBoundsCheckILm5EiEESD_Lm5ESE_iEESJ_NS8_INS9_ISB_SC_Lm4ESE_iEESI_SC_Lm5ESE_iEEiiiiiiiii,@function
_ZN2at6native12_GLOBAL__N_144conv_depthwise3d_cuda_backward_weight_kernelIN3c104HalfEfLi2ELi2EEEvN5torch10headeronly6detail27GenericPackedTensorAccessorINS7_14TensorAccessorINS3_8ArrayRefIlEEKT_Lm4ENS6_16DefaultPtrTraitsEiEENS_6detail16IndexBoundsCheckILm5EiEESD_Lm5ESE_iEESJ_NS8_INS9_ISB_SC_Lm4ESE_iEESI_SC_Lm5ESE_iEEiiiiiiiii: ; @_ZN2at6native12_GLOBAL__N_144conv_depthwise3d_cuda_backward_weight_kernelIN3c104HalfEfLi2ELi2EEEvN5torch10headeronly6detail27GenericPackedTensorAccessorINS7_14TensorAccessorINS3_8ArrayRefIlEEKT_Lm4ENS6_16DefaultPtrTraitsEiEENS_6detail16IndexBoundsCheckILm5EiEESD_Lm5ESE_iEESJ_NS8_INS9_ISB_SC_Lm4ESE_iEESI_SC_Lm5ESE_iEEiiiiiiiii
; %bb.0:
	s_load_b128 s[4:7], s[0:1], 0x70
	s_add_u32 s2, s0, 0x60
	s_addc_u32 s3, s1, 0
	s_clause 0x1
	s_load_b128 s[16:19], s[0:1], 0x3c
	s_load_b128 s[20:23], s[0:1], 0xc
	s_waitcnt lgkmcnt(0)
	v_cvt_f32_u32_e32 v1, s6
	v_cvt_f32_u32_e32 v2, s5
	s_sub_i32 s9, 0, s6
	s_delay_alu instid0(VALU_DEP_2) | instskip(NEXT) | instid1(VALU_DEP_1)
	v_rcp_iflag_f32_e32 v1, v1
	v_rcp_iflag_f32_e32 v2, v2
	s_waitcnt_depctr 0xfff
	v_dual_mul_f32 v1, 0x4f7ffffe, v1 :: v_dual_mul_f32 v2, 0x4f7ffffe, v2
	s_delay_alu instid0(VALU_DEP_1) | instskip(NEXT) | instid1(VALU_DEP_2)
	v_cvt_u32_f32_e32 v1, v1
	v_cvt_u32_f32_e32 v2, v2
	s_delay_alu instid0(VALU_DEP_2) | instskip(SKIP_1) | instid1(VALU_DEP_3)
	v_readfirstlane_b32 s8, v1
	v_cvt_f32_u32_e32 v1, s4
	v_readfirstlane_b32 s13, v2
	s_delay_alu instid0(VALU_DEP_3) | instskip(NEXT) | instid1(VALU_DEP_2)
	s_mul_i32 s9, s9, s8
	v_rcp_iflag_f32_e32 v1, v1
	s_mul_hi_u32 s9, s8, s9
	s_delay_alu instid0(SALU_CYCLE_1) | instskip(NEXT) | instid1(SALU_CYCLE_1)
	s_add_i32 s8, s8, s9
	s_mul_hi_u32 s8, s15, s8
	s_delay_alu instid0(SALU_CYCLE_1)
	s_mul_i32 s9, s8, s6
	s_add_i32 s10, s8, 1
	s_sub_i32 s9, s15, s9
	s_waitcnt_depctr 0xfff
	v_mul_f32_e32 v1, 0x4f7ffffe, v1
	s_sub_i32 s11, s9, s6
	s_cmp_ge_u32 s9, s6
	s_cselect_b32 s8, s10, s8
	s_cselect_b32 s9, s11, s9
	s_add_i32 s10, s8, 1
	s_cmp_ge_u32 s9, s6
	v_cvt_u32_f32_e32 v1, v1
	s_cselect_b32 s12, s10, s8
	s_sub_i32 s8, 0, s5
	s_delay_alu instid0(SALU_CYCLE_1) | instskip(NEXT) | instid1(VALU_DEP_1)
	s_mul_i32 s8, s8, s13
	v_readfirstlane_b32 s14, v1
	s_mul_hi_u32 s8, s13, s8
	s_delay_alu instid0(SALU_CYCLE_1) | instskip(NEXT) | instid1(SALU_CYCLE_1)
	s_add_i32 s13, s13, s8
	s_mul_hi_u32 s8, s12, s13
	s_delay_alu instid0(SALU_CYCLE_1) | instskip(SKIP_2) | instid1(SALU_CYCLE_1)
	s_mul_i32 s9, s8, s5
	s_add_i32 s10, s8, 1
	s_sub_i32 s9, s12, s9
	s_sub_i32 s11, s9, s5
	s_cmp_ge_u32 s9, s5
	s_cselect_b32 s8, s10, s8
	s_cselect_b32 s9, s11, s9
	s_add_i32 s10, s8, 1
	s_cmp_ge_u32 s9, s5
	s_cselect_b32 s13, s10, s8
	s_sub_i32 s8, 0, s4
	s_delay_alu instid0(SALU_CYCLE_1) | instskip(NEXT) | instid1(SALU_CYCLE_1)
	s_mul_i32 s8, s8, s14
	s_mul_hi_u32 s8, s14, s8
	s_delay_alu instid0(SALU_CYCLE_1) | instskip(NEXT) | instid1(SALU_CYCLE_1)
	s_add_i32 s14, s14, s8
	s_mul_hi_u32 s8, s13, s14
	s_delay_alu instid0(SALU_CYCLE_1) | instskip(SKIP_2) | instid1(SALU_CYCLE_1)
	s_mul_i32 s9, s8, s4
	s_add_i32 s10, s8, 1
	s_sub_i32 s9, s13, s9
	s_sub_i32 s11, s9, s4
	s_cmp_ge_u32 s9, s4
	s_cselect_b32 s8, s10, s8
	s_cselect_b32 s9, s11, s9
	s_add_i32 s10, s8, 1
	s_cmp_ge_u32 s9, s4
	s_cselect_b32 s33, s10, s8
	s_abs_i32 s8, s16
	s_abs_i32 s11, s20
	v_cvt_f32_u32_e32 v1, s8
	s_sub_i32 s10, 0, s8
	s_delay_alu instid0(VALU_DEP_1) | instskip(SKIP_2) | instid1(VALU_DEP_1)
	v_rcp_iflag_f32_e32 v1, v1
	s_waitcnt_depctr 0xfff
	v_mul_f32_e32 v1, 0x4f7ffffe, v1
	v_cvt_u32_f32_e32 v1, v1
	s_delay_alu instid0(VALU_DEP_1) | instskip(NEXT) | instid1(VALU_DEP_1)
	v_readfirstlane_b32 s9, v1
	s_mul_i32 s10, s10, s9
	s_delay_alu instid0(SALU_CYCLE_1) | instskip(NEXT) | instid1(SALU_CYCLE_1)
	s_mul_hi_u32 s10, s9, s10
	s_add_i32 s9, s9, s10
	s_xor_b32 s10, s20, s16
	s_mul_hi_u32 s9, s11, s9
	s_ashr_i32 s10, s10, 31
	s_mul_i32 s14, s9, s8
	s_delay_alu instid0(SALU_CYCLE_1)
	s_sub_i32 s11, s11, s14
	s_add_i32 s14, s9, 1
	s_sub_i32 s16, s11, s8
	s_cmp_ge_u32 s11, s8
	s_cselect_b32 s9, s14, s9
	s_cselect_b32 s11, s16, s11
	s_add_i32 s14, s9, 1
	s_cmp_ge_u32 s11, s8
	s_cselect_b32 s8, s14, s9
	s_delay_alu instid0(SALU_CYCLE_1) | instskip(NEXT) | instid1(SALU_CYCLE_1)
	s_xor_b32 s8, s8, s10
	s_sub_i32 s14, s8, s10
	s_load_b32 s8, s[0:1], 0x68
	s_abs_i32 s38, s14
	s_delay_alu instid0(SALU_CYCLE_1) | instskip(NEXT) | instid1(VALU_DEP_1)
	v_cvt_f32_u32_e32 v1, s38
	v_rcp_iflag_f32_e32 v1, v1
	s_waitcnt_depctr 0xfff
	v_mul_f32_e32 v1, 0x4f7ffffe, v1
	s_waitcnt lgkmcnt(0)
	s_cmp_ge_i32 s33, s8
	s_delay_alu instid0(VALU_DEP_1) | instskip(NEXT) | instid1(VALU_DEP_1)
	v_cvt_u32_f32_e32 v1, v1
	v_readfirstlane_b32 s24, v1
	s_cbranch_scc1 .LBB39_28
; %bb.1:
	s_clause 0x1
	s_load_b32 s20, s[0:1], 0x38
	s_load_b32 s16, s[0:1], 0xc4
	s_clause 0x1
	s_load_b64 s[34:35], s[2:3], 0x0
	s_load_b128 s[8:11], s[2:3], 0x24
	v_lshrrev_b32_e32 v4, 5, v0
	v_mov_b32_e32 v2, 0
	s_mul_i32 s2, s12, s6
	s_mul_i32 s5, s13, s5
	s_mul_i32 s4, s33, s4
	s_sub_i32 s3, s15, s2
	s_sub_i32 s5, s12, s5
	;; [unrolled: 1-line block ×3, first 2 shown]
	s_mov_b32 s36, exec_lo
	s_waitcnt lgkmcnt(0)
	s_mul_i32 s20, s20, s21
	s_and_b32 s16, s16, 0xffff
	v_cmpx_gt_i32_e64 s20, v4
	s_cbranch_execz .LBB39_23
; %bb.2:
	s_sub_i32 s2, 0, s38
	s_abs_i32 s26, s33
	s_mul_i32 s2, s2, s24
	s_ashr_i32 s25, s14, 31
	s_mul_hi_u32 s2, s24, s2
	s_clause 0x2
	s_load_b128 s[28:31], s[0:1], 0x9c
	s_load_b64 s[40:41], s[0:1], 0x0
	s_load_b128 s[12:15], s[0:1], 0x1c
	s_add_i32 s24, s24, s2
	s_ashr_i32 s4, s33, 31
	s_mul_hi_u32 s2, s26, s24
	s_lshr_b32 s37, s16, 5
	s_waitcnt lgkmcnt(0)
	s_mul_i32 s15, s2, s38
	s_xor_b32 s4, s4, s25
	s_sub_i32 s15, s26, s15
	s_add_i32 s39, s2, 1
	s_sub_i32 s42, s15, s38
	s_load_b128 s[24:27], s[0:1], 0x4c
	s_cmp_ge_u32 s15, s38
	v_mov_b32_e32 v10, 0
	s_cselect_b32 s2, s39, s2
	s_cselect_b32 s15, s42, s15
	s_waitcnt lgkmcnt(0)
	s_add_i32 s27, s2, 1
	s_cmp_ge_u32 s15, s38
	s_clause 0x1
	s_load_b64 s[38:39], s[0:1], 0x30
	s_load_b64 s[42:43], s[0:1], 0xac
	s_cselect_b32 s2, s27, s2
	s_mul_i32 s0, s13, s33
	s_xor_b32 s2, s2, s4
	s_ashr_i32 s1, s0, 31
	s_sub_i32 s2, s2, s4
	s_abs_i32 s45, s21
	s_mul_i32 s4, s6, s31
	s_lshl_b64 s[0:1], s[0:1], 1
	s_ashr_i32 s44, s21, 31
	s_sub_i32 s46, 0, s45
	s_sub_i32 s4, s4, s28
	s_add_u32 s13, s40, s0
	s_mul_i32 s0, s25, s2
	s_addc_u32 s15, s41, s1
	s_ashr_i32 s1, s0, 31
	v_cvt_f32_u32_e32 v1, s45
	s_lshl_b64 s[0:1], s[0:1], 1
	s_mov_b32 s28, 0
	s_waitcnt lgkmcnt(0)
	s_add_u32 s25, s38, s0
	s_addc_u32 s27, s39, s1
	s_abs_i32 s1, s23
	v_rcp_iflag_f32_e32 v1, v1
	v_cvt_f32_u32_e32 v2, s1
	s_sub_i32 s0, 0, s1
	s_delay_alu instid0(VALU_DEP_1) | instskip(SKIP_2) | instid1(VALU_DEP_1)
	v_rcp_iflag_f32_e32 v2, v2
	s_waitcnt_depctr 0xfff
	v_dual_mul_f32 v1, 0x4f7ffffe, v1 :: v_dual_mul_f32 v2, 0x4f7ffffe, v2
	v_cvt_u32_f32_e32 v1, v1
	s_delay_alu instid0(VALU_DEP_2) | instskip(NEXT) | instid1(VALU_DEP_2)
	v_cvt_u32_f32_e32 v2, v2
	v_mul_lo_u32 v3, s46, v1
	s_delay_alu instid0(VALU_DEP_2) | instskip(NEXT) | instid1(VALU_DEP_2)
	v_mul_lo_u32 v5, s0, v2
	v_mul_hi_u32 v3, v1, v3
	s_delay_alu instid0(VALU_DEP_2) | instskip(NEXT) | instid1(VALU_DEP_2)
	v_mul_hi_u32 v5, v2, v5
	v_add_nc_u32_e32 v1, v1, v3
	v_and_b32_e32 v3, 31, v0
	s_delay_alu instid0(VALU_DEP_2) | instskip(NEXT) | instid1(VALU_DEP_1)
	v_mul_hi_u32 v1, v4, v1
	v_add_nc_u32_e32 v7, 1, v1
	v_add_nc_u32_e32 v2, v2, v5
	v_mul_lo_u32 v5, v1, s45
	s_delay_alu instid0(VALU_DEP_1) | instskip(NEXT) | instid1(VALU_DEP_1)
	v_sub_nc_u32_e32 v5, v4, v5
	v_cmp_le_u32_e32 vcc_lo, s45, v5
	v_cndmask_b32_e32 v1, v1, v7, vcc_lo
	v_mul_hi_u32 v2, v3, v2
	v_subrev_nc_u32_e32 v7, s45, v5
	s_delay_alu instid0(VALU_DEP_1) | instskip(NEXT) | instid1(VALU_DEP_4)
	v_cndmask_b32_e32 v5, v5, v7, vcc_lo
	v_add_nc_u32_e32 v7, 1, v1
	s_delay_alu instid0(VALU_DEP_4) | instskip(SKIP_1) | instid1(VALU_DEP_4)
	v_mul_lo_u32 v6, v2, s1
	v_add_nc_u32_e32 v8, 1, v2
	v_cmp_le_u32_e32 vcc_lo, s45, v5
	s_delay_alu instid0(VALU_DEP_3) | instskip(SKIP_2) | instid1(VALU_DEP_3)
	v_sub_nc_u32_e32 v6, v3, v6
	v_cndmask_b32_e32 v1, v1, v7, vcc_lo
	v_mov_b32_e32 v7, 0
	v_subrev_nc_u32_e32 v9, s1, v6
	v_cmp_le_u32_e64 s0, s1, v6
	s_delay_alu instid0(VALU_DEP_4) | instskip(NEXT) | instid1(VALU_DEP_2)
	v_xor_b32_e32 v1, s44, v1
	v_cndmask_b32_e64 v2, v2, v8, s0
	s_delay_alu instid0(VALU_DEP_4) | instskip(SKIP_1) | instid1(VALU_DEP_3)
	v_cndmask_b32_e64 v6, v6, v9, s0
	s_ashr_i32 s0, s23, 31
	v_subrev_nc_u32_e32 v5, s44, v1
	s_delay_alu instid0(VALU_DEP_3) | instskip(NEXT) | instid1(VALU_DEP_3)
	v_add_nc_u32_e32 v8, 1, v2
	v_cmp_le_u32_e32 vcc_lo, s1, v6
	s_mul_i32 s1, s5, s42
	s_delay_alu instid0(VALU_DEP_3) | instskip(SKIP_3) | instid1(VALU_DEP_2)
	v_mul_lo_u32 v1, v5, s21
	s_sub_i32 s29, s1, s29
	v_cndmask_b32_e32 v2, v2, v8, vcc_lo
	v_lshlrev_b32_e32 v8, 1, v3
	v_xor_b32_e32 v2, s0, v2
	s_delay_alu instid0(VALU_DEP_4) | instskip(NEXT) | instid1(VALU_DEP_2)
	v_sub_nc_u32_e32 v9, v4, v1
	v_subrev_nc_u32_e32 v6, s0, v2
	s_mul_i32 s0, s3, s43
	s_delay_alu instid0(SALU_CYCLE_1) | instskip(NEXT) | instid1(VALU_DEP_1)
	s_sub_i32 s30, s0, s30
	v_mul_lo_u32 v2, v6, s23
	v_cmp_gt_i32_e32 vcc_lo, s22, v6
	s_delay_alu instid0(VALU_DEP_2)
	v_sub_nc_u32_e32 v11, v3, v2
	s_branch .LBB39_6
.LBB39_3:                               ;   in Loop: Header=BB39_6 Depth=1
	s_or_b32 exec_lo, exec_lo, s39
.LBB39_4:                               ;   in Loop: Header=BB39_6 Depth=1
	s_delay_alu instid0(SALU_CYCLE_1)
	s_or_b32 exec_lo, exec_lo, s38
.LBB39_5:                               ;   in Loop: Header=BB39_6 Depth=1
	s_delay_alu instid0(SALU_CYCLE_1) | instskip(SKIP_2) | instid1(VALU_DEP_2)
	s_or_b32 exec_lo, exec_lo, s31
	v_add_nc_u32_e32 v4, s37, v4
	v_add_nc_u32_e32 v9, s37, v9
	v_cmp_le_i32_e64 s0, s20, v4
	s_delay_alu instid0(VALU_DEP_1) | instskip(NEXT) | instid1(SALU_CYCLE_1)
	s_or_b32 s28, s0, s28
	s_and_not1_b32 exec_lo, exec_lo, s28
	s_cbranch_execz .LBB39_22
.LBB39_6:                               ; =>This Loop Header: Depth=1
                                        ;     Child Loop BB39_8 Depth 2
                                        ;     Child Loop BB39_14 Depth 2
                                        ;       Child Loop BB39_20 Depth 3
	s_mov_b32 s1, exec_lo
	v_cmpx_le_i32_e64 s21, v9
	s_cbranch_execz .LBB39_10
; %bb.7:                                ;   in Loop: Header=BB39_6 Depth=1
	s_mov_b32 s2, 0
.LBB39_8:                               ;   Parent Loop BB39_6 Depth=1
                                        ; =>  This Inner Loop Header: Depth=2
	v_subrev_nc_u32_e32 v9, s21, v9
	v_add_nc_u32_e32 v5, 1, v5
	s_delay_alu instid0(VALU_DEP_2) | instskip(NEXT) | instid1(VALU_DEP_1)
	v_cmp_gt_i32_e64 s0, s21, v9
	s_or_b32 s2, s0, s2
	s_delay_alu instid0(SALU_CYCLE_1)
	s_and_not1_b32 exec_lo, exec_lo, s2
	s_cbranch_execnz .LBB39_8
; %bb.9:                                ;   in Loop: Header=BB39_6 Depth=1
	s_or_b32 exec_lo, exec_lo, s2
.LBB39_10:                              ;   in Loop: Header=BB39_6 Depth=1
	s_delay_alu instid0(SALU_CYCLE_1) | instskip(SKIP_1) | instid1(VALU_DEP_1)
	s_or_b32 exec_lo, exec_lo, s1
	v_mad_u64_u32 v[1:2], null, v9, s11, s[4:5]
	v_cmp_lt_i32_e64 s0, -1, v1
	v_cmp_gt_i32_e64 s1, s17, v1
	s_delay_alu instid0(VALU_DEP_1) | instskip(NEXT) | instid1(SALU_CYCLE_1)
	s_and_b32 s0, s0, s1
	s_and_saveexec_b32 s31, s0
	s_cbranch_execz .LBB39_5
; %bb.11:                               ;   in Loop: Header=BB39_6 Depth=1
	s_and_saveexec_b32 s38, vcc_lo
	s_cbranch_execz .LBB39_4
; %bb.12:                               ;   in Loop: Header=BB39_6 Depth=1
	v_mul_lo_u32 v2, s12, v5
	v_mul_lo_u32 v12, s24, v5
	;; [unrolled: 1-line block ×4, first 2 shown]
	s_mov_b32 s39, 0
	s_delay_alu instid0(VALU_DEP_4) | instskip(NEXT) | instid1(VALU_DEP_4)
	v_ashrrev_i32_e32 v3, 31, v2
	v_ashrrev_i32_e32 v13, 31, v12
	s_delay_alu instid0(VALU_DEP_4) | instskip(NEXT) | instid1(VALU_DEP_4)
	v_ashrrev_i32_e32 v17, 31, v16
	v_ashrrev_i32_e32 v15, 31, v14
	s_delay_alu instid0(VALU_DEP_4) | instskip(NEXT) | instid1(VALU_DEP_4)
	v_lshlrev_b64 v[1:2], 1, v[2:3]
	v_lshlrev_b64 v[12:13], 1, v[12:13]
	s_delay_alu instid0(VALU_DEP_4) | instskip(NEXT) | instid1(VALU_DEP_4)
	v_lshlrev_b64 v[16:17], 1, v[16:17]
	v_lshlrev_b64 v[14:15], 1, v[14:15]
	s_delay_alu instid0(VALU_DEP_4) | instskip(NEXT) | instid1(VALU_DEP_1)
	v_add_co_u32 v1, s0, s13, v1
	v_add_co_ci_u32_e64 v2, s0, s15, v2, s0
	v_add_co_u32 v3, s0, s25, v12
	s_delay_alu instid0(VALU_DEP_1) | instskip(NEXT) | instid1(VALU_DEP_4)
	v_add_co_ci_u32_e64 v13, s0, s27, v13, s0
	v_add_co_u32 v1, s0, v1, v16
	s_delay_alu instid0(VALU_DEP_1) | instskip(NEXT) | instid1(VALU_DEP_4)
	;; [unrolled: 3-line block ×3, first 2 shown]
	v_add_co_ci_u32_e64 v13, s0, v13, v15, s0
	v_add_co_u32 v1, s0, v1, v8
	s_delay_alu instid0(VALU_DEP_1)
	v_add_co_ci_u32_e64 v2, s0, 0, v2, s0
	v_dual_mov_b32 v14, v11 :: v_dual_mov_b32 v15, v6
	s_branch .LBB39_14
.LBB39_13:                              ;   in Loop: Header=BB39_14 Depth=2
	s_or_b32 exec_lo, exec_lo, s1
	v_cmp_le_i32_e64 s0, s22, v15
	v_add_co_u32 v1, s1, v1, 64
	s_delay_alu instid0(VALU_DEP_1) | instskip(SKIP_3) | instid1(SALU_CYCLE_1)
	v_add_co_ci_u32_e64 v2, s1, 0, v2, s1
	s_waitcnt vmcnt(0)
	v_fma_mix_f32 v10, v17, v16, v10 op_sel_hi:[0,1,0]
	s_or_b32 s39, s0, s39
	s_and_not1_b32 exec_lo, exec_lo, s39
	s_cbranch_execz .LBB39_3
.LBB39_14:                              ;   Parent Loop BB39_6 Depth=1
                                        ; =>  This Loop Header: Depth=2
                                        ;       Child Loop BB39_20 Depth 3
	global_load_u16 v16, v[1:2], off
	v_lshl_add_u32 v3, v14, 1, s30
	v_mov_b32_e32 v17, 0
	s_mov_b32 s40, exec_lo
	s_delay_alu instid0(VALU_DEP_2)
	v_cmpx_lt_i32_e32 -1, v3
	s_cbranch_execz .LBB39_18
; %bb.15:                               ;   in Loop: Header=BB39_14 Depth=2
	v_lshl_add_u32 v18, v15, 1, s29
	v_cmp_gt_i32_e64 s0, s19, v3
	v_mov_b32_e32 v17, 0
	s_delay_alu instid0(VALU_DEP_3) | instskip(SKIP_1) | instid1(VALU_DEP_2)
	v_cmp_gt_i32_e64 s1, s18, v18
	v_cmp_lt_i32_e64 s2, -1, v18
	s_and_b32 s0, s0, s1
	s_delay_alu instid0(VALU_DEP_1) | instid1(SALU_CYCLE_1)
	s_and_b32 s0, s0, s2
	s_delay_alu instid0(SALU_CYCLE_1)
	s_and_saveexec_b32 s1, s0
	s_cbranch_execz .LBB39_17
; %bb.16:                               ;   in Loop: Header=BB39_14 Depth=2
	v_mad_u64_u32 v[19:20], null, v18, s19, v[3:4]
	v_mov_b32_e32 v20, v7
	s_delay_alu instid0(VALU_DEP_1) | instskip(NEXT) | instid1(VALU_DEP_1)
	v_lshlrev_b64 v[17:18], 1, v[19:20]
	v_add_co_u32 v17, s0, v12, v17
	s_delay_alu instid0(VALU_DEP_1)
	v_add_co_ci_u32_e64 v18, s0, v13, v18, s0
	global_load_u16 v3, v[17:18], off
	s_waitcnt vmcnt(0)
	v_cvt_f32_f16_e32 v17, v3
.LBB39_17:                              ;   in Loop: Header=BB39_14 Depth=2
	s_or_b32 exec_lo, exec_lo, s1
.LBB39_18:                              ;   in Loop: Header=BB39_14 Depth=2
	s_delay_alu instid0(SALU_CYCLE_1) | instskip(SKIP_2) | instid1(VALU_DEP_1)
	s_or_b32 exec_lo, exec_lo, s40
	v_add_nc_u32_e32 v14, 32, v14
	s_mov_b32 s1, exec_lo
	v_cmpx_le_i32_e64 s23, v14
	s_cbranch_execz .LBB39_13
; %bb.19:                               ;   in Loop: Header=BB39_14 Depth=2
	s_mov_b32 s2, 0
.LBB39_20:                              ;   Parent Loop BB39_6 Depth=1
                                        ;     Parent Loop BB39_14 Depth=2
                                        ; =>    This Inner Loop Header: Depth=3
	v_subrev_nc_u32_e32 v14, s23, v14
	v_add_nc_u32_e32 v15, 1, v15
	s_delay_alu instid0(VALU_DEP_2) | instskip(NEXT) | instid1(VALU_DEP_1)
	v_cmp_gt_i32_e64 s0, s23, v14
	s_or_b32 s2, s0, s2
	s_delay_alu instid0(SALU_CYCLE_1)
	s_and_not1_b32 exec_lo, exec_lo, s2
	s_cbranch_execnz .LBB39_20
; %bb.21:                               ;   in Loop: Header=BB39_14 Depth=2
	s_or_b32 exec_lo, exec_lo, s2
	s_branch .LBB39_13
.LBB39_22:
	s_or_b32 exec_lo, exec_lo, s28
	v_cvt_f16_f32_e32 v2, v10
.LBB39_23:
	s_or_b32 exec_lo, exec_lo, s36
	v_lshl_add_u32 v1, v0, 1, 0
	s_bcnt1_i32_b32 s0, s16
	s_delay_alu instid0(SALU_CYCLE_1)
	s_cmp_lg_u32 s0, 1
	s_mov_b32 s0, -1
	ds_store_b16 v1, v2
	s_waitcnt lgkmcnt(0)
	s_barrier
	buffer_gl0_inv
	s_cbranch_scc1 .LBB39_32
; %bb.24:
	s_and_not1_b32 vcc_lo, exec_lo, s0
	s_cbranch_vccnz .LBB39_28
.LBB39_25:
	s_cmp_lt_u32 s16, 2
	s_cbranch_scc0 .LBB39_30
.LBB39_26:
	s_mov_b32 s0, exec_lo
	v_cmpx_eq_u32_e32 0, v0
	s_cbranch_execz .LBB39_28
; %bb.27:
	s_mul_i32 s0, s7, s33
	v_mov_b32_e32 v0, 0
	s_ashr_i32 s1, s0, 31
	s_mul_i32 s6, s8, s6
	s_lshl_b64 s[0:1], s[0:1], 1
	s_mul_i32 s4, s9, s5
	ds_load_u16 v1, v0
	s_add_u32 s2, s34, s0
	s_addc_u32 s8, s35, s1
	s_ashr_i32 s7, s6, 31
	s_delay_alu instid0(SALU_CYCLE_1) | instskip(NEXT) | instid1(SALU_CYCLE_1)
	s_lshl_b64 s[0:1], s[6:7], 1
	s_add_u32 s2, s2, s0
	s_addc_u32 s6, s8, s1
	s_ashr_i32 s5, s4, 31
	s_delay_alu instid0(SALU_CYCLE_1) | instskip(NEXT) | instid1(SALU_CYCLE_1)
	s_lshl_b64 s[0:1], s[4:5], 1
	s_add_u32 s2, s2, s0
	s_mul_i32 s0, s10, s3
	s_addc_u32 s3, s6, s1
	s_ashr_i32 s1, s0, 31
	s_delay_alu instid0(SALU_CYCLE_1) | instskip(NEXT) | instid1(SALU_CYCLE_1)
	s_lshl_b64 s[0:1], s[0:1], 1
	s_add_u32 s0, s2, s0
	s_addc_u32 s1, s3, s1
	s_waitcnt lgkmcnt(0)
	global_store_b16 v0, v1, s[0:1]
.LBB39_28:
	s_nop 0
	s_sendmsg sendmsg(MSG_DEALLOC_VGPRS)
	s_endpgm
	.p2align	6
.LBB39_29:                              ;   in Loop: Header=BB39_30 Depth=1
	s_or_b32 exec_lo, exec_lo, s1
	s_cmp_lt_u32 s16, 4
	s_mov_b32 s16, s0
	s_waitcnt lgkmcnt(0)
	s_barrier
	buffer_gl0_inv
	s_cbranch_scc1 .LBB39_26
.LBB39_30:                              ; =>This Inner Loop Header: Depth=1
	s_lshr_b32 s0, s16, 1
	s_mov_b32 s1, exec_lo
	v_cmpx_gt_u32_e64 s0, v0
	s_cbranch_execz .LBB39_29
; %bb.31:                               ;   in Loop: Header=BB39_30 Depth=1
	v_lshl_add_u32 v2, s0, 1, v1
	ds_load_u16 v2, v2
	ds_load_u16 v3, v1
	s_waitcnt lgkmcnt(0)
	v_add_f16_e32 v2, v2, v3
	ds_store_b16 v1, v2
	s_branch .LBB39_29
.LBB39_32:
	s_cbranch_execnz .LBB39_34
; %bb.33:
	; divergent unreachable
	s_cbranch_execz .LBB39_25
	s_branch .LBB39_28
.LBB39_34:
	s_trap 2
	s_sendmsg_rtn_b32 s0, sendmsg(MSG_RTN_GET_DOORBELL)
	s_mov_b32 ttmp2, m0
	s_waitcnt lgkmcnt(0)
	s_and_b32 s0, s0, 0x3ff
	s_delay_alu instid0(SALU_CYCLE_1) | instskip(NEXT) | instid1(SALU_CYCLE_1)
	s_bitset1_b32 s0, 10
	s_mov_b32 m0, s0
	s_sendmsg sendmsg(MSG_INTERRUPT)
	s_mov_b32 m0, ttmp2
.LBB39_35:                              ; =>This Inner Loop Header: Depth=1
	s_sethalt 5
	s_branch .LBB39_35
	.section	.rodata,"a",@progbits
	.p2align	6, 0x0
	.amdhsa_kernel _ZN2at6native12_GLOBAL__N_144conv_depthwise3d_cuda_backward_weight_kernelIN3c104HalfEfLi2ELi2EEEvN5torch10headeronly6detail27GenericPackedTensorAccessorINS7_14TensorAccessorINS3_8ArrayRefIlEEKT_Lm4ENS6_16DefaultPtrTraitsEiEENS_6detail16IndexBoundsCheckILm5EiEESD_Lm5ESE_iEESJ_NS8_INS9_ISB_SC_Lm4ESE_iEESI_SC_Lm5ESE_iEEiiiiiiiii
		.amdhsa_group_segment_fixed_size 0
		.amdhsa_private_segment_fixed_size 0
		.amdhsa_kernarg_size 440
		.amdhsa_user_sgpr_count 15
		.amdhsa_user_sgpr_dispatch_ptr 0
		.amdhsa_user_sgpr_queue_ptr 0
		.amdhsa_user_sgpr_kernarg_segment_ptr 1
		.amdhsa_user_sgpr_dispatch_id 0
		.amdhsa_user_sgpr_private_segment_size 0
		.amdhsa_wavefront_size32 1
		.amdhsa_uses_dynamic_stack 0
		.amdhsa_enable_private_segment 0
		.amdhsa_system_sgpr_workgroup_id_x 1
		.amdhsa_system_sgpr_workgroup_id_y 0
		.amdhsa_system_sgpr_workgroup_id_z 0
		.amdhsa_system_sgpr_workgroup_info 0
		.amdhsa_system_vgpr_workitem_id 0
		.amdhsa_next_free_vgpr 21
		.amdhsa_next_free_sgpr 47
		.amdhsa_reserve_vcc 1
		.amdhsa_float_round_mode_32 0
		.amdhsa_float_round_mode_16_64 0
		.amdhsa_float_denorm_mode_32 3
		.amdhsa_float_denorm_mode_16_64 3
		.amdhsa_dx10_clamp 1
		.amdhsa_ieee_mode 1
		.amdhsa_fp16_overflow 0
		.amdhsa_workgroup_processor_mode 1
		.amdhsa_memory_ordered 1
		.amdhsa_forward_progress 0
		.amdhsa_shared_vgpr_count 0
		.amdhsa_exception_fp_ieee_invalid_op 0
		.amdhsa_exception_fp_denorm_src 0
		.amdhsa_exception_fp_ieee_div_zero 0
		.amdhsa_exception_fp_ieee_overflow 0
		.amdhsa_exception_fp_ieee_underflow 0
		.amdhsa_exception_fp_ieee_inexact 0
		.amdhsa_exception_int_div_zero 0
	.end_amdhsa_kernel
	.section	.text._ZN2at6native12_GLOBAL__N_144conv_depthwise3d_cuda_backward_weight_kernelIN3c104HalfEfLi2ELi2EEEvN5torch10headeronly6detail27GenericPackedTensorAccessorINS7_14TensorAccessorINS3_8ArrayRefIlEEKT_Lm4ENS6_16DefaultPtrTraitsEiEENS_6detail16IndexBoundsCheckILm5EiEESD_Lm5ESE_iEESJ_NS8_INS9_ISB_SC_Lm4ESE_iEESI_SC_Lm5ESE_iEEiiiiiiiii,"axG",@progbits,_ZN2at6native12_GLOBAL__N_144conv_depthwise3d_cuda_backward_weight_kernelIN3c104HalfEfLi2ELi2EEEvN5torch10headeronly6detail27GenericPackedTensorAccessorINS7_14TensorAccessorINS3_8ArrayRefIlEEKT_Lm4ENS6_16DefaultPtrTraitsEiEENS_6detail16IndexBoundsCheckILm5EiEESD_Lm5ESE_iEESJ_NS8_INS9_ISB_SC_Lm4ESE_iEESI_SC_Lm5ESE_iEEiiiiiiiii,comdat
.Lfunc_end39:
	.size	_ZN2at6native12_GLOBAL__N_144conv_depthwise3d_cuda_backward_weight_kernelIN3c104HalfEfLi2ELi2EEEvN5torch10headeronly6detail27GenericPackedTensorAccessorINS7_14TensorAccessorINS3_8ArrayRefIlEEKT_Lm4ENS6_16DefaultPtrTraitsEiEENS_6detail16IndexBoundsCheckILm5EiEESD_Lm5ESE_iEESJ_NS8_INS9_ISB_SC_Lm4ESE_iEESI_SC_Lm5ESE_iEEiiiiiiiii, .Lfunc_end39-_ZN2at6native12_GLOBAL__N_144conv_depthwise3d_cuda_backward_weight_kernelIN3c104HalfEfLi2ELi2EEEvN5torch10headeronly6detail27GenericPackedTensorAccessorINS7_14TensorAccessorINS3_8ArrayRefIlEEKT_Lm4ENS6_16DefaultPtrTraitsEiEENS_6detail16IndexBoundsCheckILm5EiEESD_Lm5ESE_iEESJ_NS8_INS9_ISB_SC_Lm4ESE_iEESI_SC_Lm5ESE_iEEiiiiiiiii
                                        ; -- End function
	.section	.AMDGPU.csdata,"",@progbits
; Kernel info:
; codeLenInByte = 2272
; NumSgprs: 49
; NumVgprs: 21
; ScratchSize: 0
; MemoryBound: 0
; FloatMode: 240
; IeeeMode: 1
; LDSByteSize: 0 bytes/workgroup (compile time only)
; SGPRBlocks: 6
; VGPRBlocks: 2
; NumSGPRsForWavesPerEU: 49
; NumVGPRsForWavesPerEU: 21
; Occupancy: 16
; WaveLimiterHint : 1
; COMPUTE_PGM_RSRC2:SCRATCH_EN: 0
; COMPUTE_PGM_RSRC2:USER_SGPR: 15
; COMPUTE_PGM_RSRC2:TRAP_HANDLER: 0
; COMPUTE_PGM_RSRC2:TGID_X_EN: 1
; COMPUTE_PGM_RSRC2:TGID_Y_EN: 0
; COMPUTE_PGM_RSRC2:TGID_Z_EN: 0
; COMPUTE_PGM_RSRC2:TIDIG_COMP_CNT: 0
	.section	.text._ZN2at6native12_GLOBAL__N_144conv_depthwise3d_cuda_backward_weight_kernelIN3c104HalfEfLin1ELin1EEEvN5torch10headeronly6detail27GenericPackedTensorAccessorINS7_14TensorAccessorINS3_8ArrayRefIlEEKT_Lm4ENS6_16DefaultPtrTraitsEiEENS_6detail16IndexBoundsCheckILm5EiEESD_Lm5ESE_iEESJ_NS8_INS9_ISB_SC_Lm4ESE_iEESI_SC_Lm5ESE_iEEiiiiiiiii,"axG",@progbits,_ZN2at6native12_GLOBAL__N_144conv_depthwise3d_cuda_backward_weight_kernelIN3c104HalfEfLin1ELin1EEEvN5torch10headeronly6detail27GenericPackedTensorAccessorINS7_14TensorAccessorINS3_8ArrayRefIlEEKT_Lm4ENS6_16DefaultPtrTraitsEiEENS_6detail16IndexBoundsCheckILm5EiEESD_Lm5ESE_iEESJ_NS8_INS9_ISB_SC_Lm4ESE_iEESI_SC_Lm5ESE_iEEiiiiiiiii,comdat
	.globl	_ZN2at6native12_GLOBAL__N_144conv_depthwise3d_cuda_backward_weight_kernelIN3c104HalfEfLin1ELin1EEEvN5torch10headeronly6detail27GenericPackedTensorAccessorINS7_14TensorAccessorINS3_8ArrayRefIlEEKT_Lm4ENS6_16DefaultPtrTraitsEiEENS_6detail16IndexBoundsCheckILm5EiEESD_Lm5ESE_iEESJ_NS8_INS9_ISB_SC_Lm4ESE_iEESI_SC_Lm5ESE_iEEiiiiiiiii ; -- Begin function _ZN2at6native12_GLOBAL__N_144conv_depthwise3d_cuda_backward_weight_kernelIN3c104HalfEfLin1ELin1EEEvN5torch10headeronly6detail27GenericPackedTensorAccessorINS7_14TensorAccessorINS3_8ArrayRefIlEEKT_Lm4ENS6_16DefaultPtrTraitsEiEENS_6detail16IndexBoundsCheckILm5EiEESD_Lm5ESE_iEESJ_NS8_INS9_ISB_SC_Lm4ESE_iEESI_SC_Lm5ESE_iEEiiiiiiiii
	.p2align	8
	.type	_ZN2at6native12_GLOBAL__N_144conv_depthwise3d_cuda_backward_weight_kernelIN3c104HalfEfLin1ELin1EEEvN5torch10headeronly6detail27GenericPackedTensorAccessorINS7_14TensorAccessorINS3_8ArrayRefIlEEKT_Lm4ENS6_16DefaultPtrTraitsEiEENS_6detail16IndexBoundsCheckILm5EiEESD_Lm5ESE_iEESJ_NS8_INS9_ISB_SC_Lm4ESE_iEESI_SC_Lm5ESE_iEEiiiiiiiii,@function
_ZN2at6native12_GLOBAL__N_144conv_depthwise3d_cuda_backward_weight_kernelIN3c104HalfEfLin1ELin1EEEvN5torch10headeronly6detail27GenericPackedTensorAccessorINS7_14TensorAccessorINS3_8ArrayRefIlEEKT_Lm4ENS6_16DefaultPtrTraitsEiEENS_6detail16IndexBoundsCheckILm5EiEESD_Lm5ESE_iEESJ_NS8_INS9_ISB_SC_Lm4ESE_iEESI_SC_Lm5ESE_iEEiiiiiiiii: ; @_ZN2at6native12_GLOBAL__N_144conv_depthwise3d_cuda_backward_weight_kernelIN3c104HalfEfLin1ELin1EEEvN5torch10headeronly6detail27GenericPackedTensorAccessorINS7_14TensorAccessorINS3_8ArrayRefIlEEKT_Lm4ENS6_16DefaultPtrTraitsEiEENS_6detail16IndexBoundsCheckILm5EiEESD_Lm5ESE_iEESJ_NS8_INS9_ISB_SC_Lm4ESE_iEESI_SC_Lm5ESE_iEEiiiiiiiii
; %bb.0:
	s_load_b128 s[16:19], s[0:1], 0x70
	s_add_u32 s2, s0, 0x60
	s_addc_u32 s3, s1, 0
	s_clause 0x1
	s_load_b128 s[20:23], s[0:1], 0x3c
	s_load_b128 s[24:27], s[0:1], 0xc
	s_waitcnt lgkmcnt(0)
	v_cvt_f32_u32_e32 v1, s18
	v_cvt_f32_u32_e32 v2, s17
	s_sub_i32 s5, 0, s18
	s_delay_alu instid0(VALU_DEP_2) | instskip(NEXT) | instid1(VALU_DEP_1)
	v_rcp_iflag_f32_e32 v1, v1
	v_rcp_iflag_f32_e32 v2, v2
	s_waitcnt_depctr 0xfff
	v_dual_mul_f32 v1, 0x4f7ffffe, v1 :: v_dual_mul_f32 v2, 0x4f7ffffe, v2
	s_delay_alu instid0(VALU_DEP_1) | instskip(NEXT) | instid1(VALU_DEP_2)
	v_cvt_u32_f32_e32 v1, v1
	v_cvt_u32_f32_e32 v2, v2
	s_delay_alu instid0(VALU_DEP_2) | instskip(SKIP_1) | instid1(VALU_DEP_3)
	v_readfirstlane_b32 s4, v1
	v_cvt_f32_u32_e32 v1, s16
	v_readfirstlane_b32 s8, v2
	s_delay_alu instid0(VALU_DEP_3) | instskip(NEXT) | instid1(VALU_DEP_2)
	s_mul_i32 s5, s5, s4
	v_rcp_iflag_f32_e32 v1, v1
	s_mul_hi_u32 s5, s4, s5
	s_delay_alu instid0(SALU_CYCLE_1) | instskip(NEXT) | instid1(SALU_CYCLE_1)
	s_add_i32 s4, s4, s5
	s_mul_hi_u32 s4, s15, s4
	s_delay_alu instid0(SALU_CYCLE_1)
	s_mul_i32 s5, s4, s18
	s_add_i32 s6, s4, 1
	s_sub_i32 s5, s15, s5
	s_waitcnt_depctr 0xfff
	v_mul_f32_e32 v1, 0x4f7ffffe, v1
	s_sub_i32 s7, s5, s18
	s_cmp_ge_u32 s5, s18
	s_cselect_b32 s4, s6, s4
	s_cselect_b32 s5, s7, s5
	s_add_i32 s6, s4, 1
	s_cmp_ge_u32 s5, s18
	v_cvt_u32_f32_e32 v1, v1
	s_cselect_b32 s12, s6, s4
	s_sub_i32 s4, 0, s17
	s_delay_alu instid0(SALU_CYCLE_1) | instskip(NEXT) | instid1(SALU_CYCLE_1)
	s_mul_i32 s4, s4, s8
	s_mul_hi_u32 s4, s8, s4
	s_delay_alu instid0(SALU_CYCLE_1) | instskip(NEXT) | instid1(SALU_CYCLE_1)
	s_add_i32 s8, s8, s4
	s_mul_hi_u32 s4, s12, s8
	v_readfirstlane_b32 s8, v1
	s_mul_i32 s5, s4, s17
	s_add_i32 s6, s4, 1
	s_sub_i32 s5, s12, s5
	s_delay_alu instid0(SALU_CYCLE_1)
	s_sub_i32 s7, s5, s17
	s_cmp_ge_u32 s5, s17
	s_cselect_b32 s4, s6, s4
	s_cselect_b32 s5, s7, s5
	s_add_i32 s6, s4, 1
	s_cmp_ge_u32 s5, s17
	s_cselect_b32 s13, s6, s4
	s_sub_i32 s4, 0, s16
	s_delay_alu instid0(SALU_CYCLE_1) | instskip(NEXT) | instid1(SALU_CYCLE_1)
	s_mul_i32 s4, s4, s8
	s_mul_hi_u32 s4, s8, s4
	s_delay_alu instid0(SALU_CYCLE_1) | instskip(NEXT) | instid1(SALU_CYCLE_1)
	s_add_i32 s8, s8, s4
	s_mul_hi_u32 s4, s13, s8
	s_delay_alu instid0(SALU_CYCLE_1) | instskip(SKIP_2) | instid1(SALU_CYCLE_1)
	s_mul_i32 s5, s4, s16
	s_add_i32 s6, s4, 1
	s_sub_i32 s5, s13, s5
	s_sub_i32 s7, s5, s16
	s_cmp_ge_u32 s5, s16
	s_cselect_b32 s4, s6, s4
	s_cselect_b32 s5, s7, s5
	s_add_i32 s6, s4, 1
	s_cmp_ge_u32 s5, s16
	s_cselect_b32 s33, s6, s4
	s_abs_i32 s4, s20
	s_abs_i32 s7, s24
	v_cvt_f32_u32_e32 v1, s4
	s_sub_i32 s6, 0, s4
	s_delay_alu instid0(VALU_DEP_1) | instskip(SKIP_2) | instid1(VALU_DEP_1)
	v_rcp_iflag_f32_e32 v1, v1
	s_waitcnt_depctr 0xfff
	v_mul_f32_e32 v1, 0x4f7ffffe, v1
	v_cvt_u32_f32_e32 v1, v1
	s_delay_alu instid0(VALU_DEP_1) | instskip(NEXT) | instid1(VALU_DEP_1)
	v_readfirstlane_b32 s5, v1
	s_mul_i32 s6, s6, s5
	s_delay_alu instid0(SALU_CYCLE_1) | instskip(NEXT) | instid1(SALU_CYCLE_1)
	s_mul_hi_u32 s6, s5, s6
	s_add_i32 s5, s5, s6
	s_xor_b32 s6, s24, s20
	s_mul_hi_u32 s5, s7, s5
	s_ashr_i32 s6, s6, 31
	s_mul_i32 s8, s5, s4
	s_delay_alu instid0(SALU_CYCLE_1)
	s_sub_i32 s7, s7, s8
	s_add_i32 s8, s5, 1
	s_sub_i32 s9, s7, s4
	s_cmp_ge_u32 s7, s4
	s_cselect_b32 s5, s8, s5
	s_cselect_b32 s7, s9, s7
	s_add_i32 s8, s5, 1
	s_cmp_ge_u32 s7, s4
	s_cselect_b32 s4, s8, s5
	s_delay_alu instid0(SALU_CYCLE_1) | instskip(NEXT) | instid1(SALU_CYCLE_1)
	s_xor_b32 s4, s4, s6
	s_sub_i32 s14, s4, s6
	s_load_b32 s4, s[0:1], 0x68
	s_abs_i32 s43, s14
	s_delay_alu instid0(SALU_CYCLE_1) | instskip(NEXT) | instid1(VALU_DEP_1)
	v_cvt_f32_u32_e32 v1, s43
	v_rcp_iflag_f32_e32 v1, v1
	s_waitcnt_depctr 0xfff
	v_mul_f32_e32 v1, 0x4f7ffffe, v1
	s_waitcnt lgkmcnt(0)
	s_cmp_ge_i32 s33, s4
	s_delay_alu instid0(VALU_DEP_1) | instskip(NEXT) | instid1(VALU_DEP_1)
	v_cvt_u32_f32_e32 v1, v1
	v_readfirstlane_b32 s28, v1
	s_cbranch_scc1 .LBB40_28
; %bb.1:
	s_clause 0x1
	s_load_b32 s40, s[0:1], 0x38
	s_load_b128 s[36:39], s[2:3], 0x44
	s_load_b32 s24, s[0:1], 0xc4
	s_clause 0x1
	s_load_b64 s[34:35], s[2:3], 0x0
	s_load_b256 s[4:11], s[2:3], 0x24
	v_lshrrev_b32_e32 v6, 5, v0
	v_mov_b32_e32 v2, 0
	s_mul_i32 s2, s12, s18
	s_mul_i32 s17, s13, s17
	;; [unrolled: 1-line block ×3, first 2 shown]
	s_sub_i32 s3, s15, s2
	s_sub_i32 s17, s12, s17
	;; [unrolled: 1-line block ×3, first 2 shown]
	s_mov_b32 s41, exec_lo
	s_waitcnt lgkmcnt(0)
	s_mul_i32 s40, s40, s25
	s_and_b32 s24, s24, 0xffff
	v_cmpx_gt_i32_e64 s40, v6
	s_cbranch_execz .LBB40_23
; %bb.2:
	s_sub_i32 s2, 0, s43
	s_ashr_i32 s18, s14, 31
	s_mul_i32 s2, s2, s28
	s_abs_i32 s29, s33
	s_mul_hi_u32 s2, s28, s2
	s_clause 0x1
	s_load_b64 s[44:45], s[0:1], 0x0
	s_load_b128 s[12:15], s[0:1], 0x1c
	s_add_i32 s28, s28, s2
	s_ashr_i32 s16, s33, 31
	s_mul_hi_u32 s2, s29, s28
	s_lshr_b32 s42, s24, 5
	s_waitcnt lgkmcnt(0)
	s_mul_i32 s15, s2, s43
	s_xor_b32 s16, s16, s18
	s_sub_i32 s15, s29, s15
	s_load_b128 s[28:31], s[0:1], 0x4c
	s_add_i32 s18, s2, 1
	s_sub_i32 s46, s15, s43
	s_cmp_ge_u32 s15, s43
	s_load_b64 s[0:1], s[0:1], 0x30
	s_cselect_b32 s2, s18, s2
	s_cselect_b32 s15, s46, s15
	s_add_i32 s18, s2, 1
	s_cmp_ge_u32 s15, s43
	v_mov_b32_e32 v13, 0
	s_cselect_b32 s2, s18, s2
	s_ashr_i32 s18, s25, 31
	s_mul_i32 s46, s13, s33
	s_xor_b32 s2, s2, s16
	s_ashr_i32 s47, s46, 31
	s_sub_i32 s2, s2, s16
	s_abs_i32 s16, s25
	s_mul_i32 s13, s20, s37
	s_lshl_b64 s[46:47], s[46:47], 1
	s_sub_i32 s43, 0, s16
	s_sub_i32 s10, s13, s10
	s_add_u32 s13, s44, s46
	s_waitcnt lgkmcnt(0)
	s_mul_i32 s44, s29, s2
	s_addc_u32 s15, s45, s47
	s_ashr_i32 s45, s44, 31
	v_cvt_f32_u32_e32 v1, s16
	s_lshl_b64 s[44:45], s[44:45], 1
	s_mov_b32 s37, 0
	s_add_u32 s29, s0, s44
	s_addc_u32 s31, s1, s45
	s_abs_i32 s1, s27
	v_rcp_iflag_f32_e32 v1, v1
	v_cvt_f32_u32_e32 v2, s1
	s_sub_i32 s0, 0, s1
	s_delay_alu instid0(VALU_DEP_1) | instskip(SKIP_2) | instid1(VALU_DEP_1)
	v_rcp_iflag_f32_e32 v2, v2
	s_waitcnt_depctr 0xfff
	v_dual_mul_f32 v1, 0x4f7ffffe, v1 :: v_dual_mul_f32 v2, 0x4f7ffffe, v2
	v_cvt_u32_f32_e32 v1, v1
	s_delay_alu instid0(VALU_DEP_2) | instskip(NEXT) | instid1(VALU_DEP_2)
	v_cvt_u32_f32_e32 v2, v2
	v_mul_lo_u32 v3, s43, v1
	s_delay_alu instid0(VALU_DEP_2) | instskip(NEXT) | instid1(VALU_DEP_2)
	v_mul_lo_u32 v4, s0, v2
	v_mul_hi_u32 v3, v1, v3
	s_delay_alu instid0(VALU_DEP_2) | instskip(NEXT) | instid1(VALU_DEP_2)
	v_mul_hi_u32 v4, v2, v4
	v_add_nc_u32_e32 v1, v1, v3
	s_delay_alu instid0(VALU_DEP_1) | instskip(NEXT) | instid1(VALU_DEP_1)
	v_mul_hi_u32 v1, v6, v1
	v_add_nc_u32_e32 v7, 1, v1
	s_delay_alu instid0(VALU_DEP_4) | instskip(SKIP_1) | instid1(VALU_DEP_1)
	v_add_nc_u32_e32 v2, v2, v4
	v_mul_lo_u32 v4, v1, s16
	v_sub_nc_u32_e32 v4, v6, v4
	s_delay_alu instid0(VALU_DEP_1) | instskip(SKIP_2) | instid1(VALU_DEP_1)
	v_cmp_le_u32_e32 vcc_lo, s16, v4
	v_cndmask_b32_e32 v1, v1, v7, vcc_lo
	v_subrev_nc_u32_e32 v7, s16, v4
	v_dual_cndmask_b32 v4, v4, v7 :: v_dual_and_b32 v3, 31, v0
	s_delay_alu instid0(VALU_DEP_1) | instskip(NEXT) | instid1(VALU_DEP_4)
	v_mul_hi_u32 v2, v3, v2
	v_add_nc_u32_e32 v7, 1, v1
	v_lshlrev_b32_e32 v10, 1, v3
	s_delay_alu instid0(VALU_DEP_4) | instskip(NEXT) | instid1(VALU_DEP_4)
	v_cmp_le_u32_e32 vcc_lo, s16, v4
	v_mul_lo_u32 v5, v2, s1
	s_delay_alu instid0(VALU_DEP_4) | instskip(NEXT) | instid1(VALU_DEP_1)
	v_dual_cndmask_b32 v1, v1, v7 :: v_dual_add_nc_u32 v8, 1, v2
	v_xor_b32_e32 v1, s18, v1
	s_delay_alu instid0(VALU_DEP_3) | instskip(NEXT) | instid1(VALU_DEP_2)
	v_sub_nc_u32_e32 v5, v3, v5
	v_subrev_nc_u32_e32 v7, s18, v1
	s_delay_alu instid0(VALU_DEP_2) | instskip(SKIP_1) | instid1(VALU_DEP_3)
	v_subrev_nc_u32_e32 v9, s1, v5
	v_cmp_le_u32_e64 s0, s1, v5
	v_mul_lo_u32 v1, v7, s25
	s_delay_alu instid0(VALU_DEP_2) | instskip(NEXT) | instid1(VALU_DEP_4)
	v_cndmask_b32_e64 v2, v2, v8, s0
	v_cndmask_b32_e64 v5, v5, v9, s0
	v_mov_b32_e32 v9, 0
	s_ashr_i32 s0, s27, 31
	s_delay_alu instid0(VALU_DEP_3) | instskip(NEXT) | instid1(VALU_DEP_3)
	v_add_nc_u32_e32 v8, 1, v2
	v_cmp_le_u32_e32 vcc_lo, s1, v5
	v_sub_nc_u32_e32 v11, v6, v1
	s_mul_i32 s1, s17, s38
	s_delay_alu instid0(SALU_CYCLE_1) | instskip(SKIP_1) | instid1(VALU_DEP_1)
	s_sub_i32 s18, s1, s11
	v_cndmask_b32_e32 v2, v2, v8, vcc_lo
	v_xor_b32_e32 v2, s0, v2
	s_delay_alu instid0(VALU_DEP_1) | instskip(SKIP_1) | instid1(SALU_CYCLE_1)
	v_subrev_nc_u32_e32 v8, s0, v2
	s_mul_i32 s0, s3, s39
	s_sub_i32 s16, s0, s36
	s_delay_alu instid0(VALU_DEP_1) | instskip(SKIP_1) | instid1(VALU_DEP_2)
	v_mul_lo_u32 v2, v8, s27
	v_cmp_gt_i32_e32 vcc_lo, s26, v8
	v_sub_nc_u32_e32 v12, v3, v2
	s_branch .LBB40_6
.LBB40_3:                               ;   in Loop: Header=BB40_6 Depth=1
	s_or_b32 exec_lo, exec_lo, s38
.LBB40_4:                               ;   in Loop: Header=BB40_6 Depth=1
	s_delay_alu instid0(SALU_CYCLE_1)
	s_or_b32 exec_lo, exec_lo, s36
.LBB40_5:                               ;   in Loop: Header=BB40_6 Depth=1
	s_delay_alu instid0(SALU_CYCLE_1) | instskip(SKIP_2) | instid1(VALU_DEP_2)
	s_or_b32 exec_lo, exec_lo, s11
	v_add_nc_u32_e32 v6, s42, v6
	v_add_nc_u32_e32 v11, s42, v11
	v_cmp_le_i32_e64 s0, s40, v6
	s_delay_alu instid0(VALU_DEP_1) | instskip(NEXT) | instid1(SALU_CYCLE_1)
	s_or_b32 s37, s0, s37
	s_and_not1_b32 exec_lo, exec_lo, s37
	s_cbranch_execz .LBB40_22
.LBB40_6:                               ; =>This Loop Header: Depth=1
                                        ;     Child Loop BB40_8 Depth 2
                                        ;     Child Loop BB40_14 Depth 2
                                        ;       Child Loop BB40_20 Depth 3
	s_mov_b32 s1, exec_lo
	v_cmpx_le_i32_e64 s25, v11
	s_cbranch_execz .LBB40_10
; %bb.7:                                ;   in Loop: Header=BB40_6 Depth=1
	s_mov_b32 s2, 0
.LBB40_8:                               ;   Parent Loop BB40_6 Depth=1
                                        ; =>  This Inner Loop Header: Depth=2
	v_subrev_nc_u32_e32 v11, s25, v11
	v_add_nc_u32_e32 v7, 1, v7
	s_delay_alu instid0(VALU_DEP_2) | instskip(NEXT) | instid1(VALU_DEP_1)
	v_cmp_gt_i32_e64 s0, s25, v11
	s_or_b32 s2, s0, s2
	s_delay_alu instid0(SALU_CYCLE_1)
	s_and_not1_b32 exec_lo, exec_lo, s2
	s_cbranch_execnz .LBB40_8
; %bb.9:                                ;   in Loop: Header=BB40_6 Depth=1
	s_or_b32 exec_lo, exec_lo, s2
.LBB40_10:                              ;   in Loop: Header=BB40_6 Depth=1
	s_delay_alu instid0(SALU_CYCLE_1) | instskip(SKIP_1) | instid1(VALU_DEP_1)
	s_or_b32 exec_lo, exec_lo, s1
	v_mad_u64_u32 v[1:2], null, v11, s7, s[10:11]
	v_cmp_lt_i32_e64 s0, -1, v1
	v_cmp_gt_i32_e64 s1, s21, v1
	s_delay_alu instid0(VALU_DEP_1) | instskip(NEXT) | instid1(SALU_CYCLE_1)
	s_and_b32 s0, s0, s1
	s_and_saveexec_b32 s11, s0
	s_cbranch_execz .LBB40_5
; %bb.11:                               ;   in Loop: Header=BB40_6 Depth=1
	s_and_saveexec_b32 s36, vcc_lo
	s_cbranch_execz .LBB40_4
; %bb.12:                               ;   in Loop: Header=BB40_6 Depth=1
	v_mul_lo_u32 v2, s12, v7
	v_mul_lo_u32 v4, s28, v7
	v_mul_lo_u32 v16, s14, v11
	v_mul_lo_u32 v14, s30, v1
	s_mov_b32 s38, 0
	s_delay_alu instid0(VALU_DEP_4) | instskip(NEXT) | instid1(VALU_DEP_4)
	v_ashrrev_i32_e32 v3, 31, v2
	v_ashrrev_i32_e32 v5, 31, v4
	s_delay_alu instid0(VALU_DEP_4) | instskip(NEXT) | instid1(VALU_DEP_4)
	v_ashrrev_i32_e32 v17, 31, v16
	v_ashrrev_i32_e32 v15, 31, v14
	s_delay_alu instid0(VALU_DEP_4) | instskip(NEXT) | instid1(VALU_DEP_4)
	v_lshlrev_b64 v[1:2], 1, v[2:3]
	v_lshlrev_b64 v[3:4], 1, v[4:5]
	s_delay_alu instid0(VALU_DEP_4) | instskip(NEXT) | instid1(VALU_DEP_4)
	v_lshlrev_b64 v[16:17], 1, v[16:17]
	v_lshlrev_b64 v[14:15], 1, v[14:15]
	s_delay_alu instid0(VALU_DEP_4) | instskip(NEXT) | instid1(VALU_DEP_1)
	v_add_co_u32 v1, s0, s13, v1
	v_add_co_ci_u32_e64 v2, s0, s15, v2, s0
	v_add_co_u32 v3, s0, s29, v3
	s_delay_alu instid0(VALU_DEP_1) | instskip(NEXT) | instid1(VALU_DEP_4)
	v_add_co_ci_u32_e64 v4, s0, s31, v4, s0
	v_add_co_u32 v1, s0, v1, v16
	s_delay_alu instid0(VALU_DEP_1) | instskip(NEXT) | instid1(VALU_DEP_4)
	;; [unrolled: 3-line block ×3, first 2 shown]
	v_add_co_ci_u32_e64 v15, s0, v4, v15, s0
	v_add_co_u32 v1, s0, v1, v10
	s_delay_alu instid0(VALU_DEP_1)
	v_add_co_ci_u32_e64 v2, s0, 0, v2, s0
	v_mov_b32_e32 v16, v12
	v_mov_b32_e32 v17, v8
	s_branch .LBB40_14
.LBB40_13:                              ;   in Loop: Header=BB40_14 Depth=2
	s_or_b32 exec_lo, exec_lo, s1
	v_cmp_le_i32_e64 s0, s26, v17
	v_add_co_u32 v1, s1, v1, 64
	s_delay_alu instid0(VALU_DEP_1) | instskip(SKIP_3) | instid1(SALU_CYCLE_1)
	v_add_co_ci_u32_e64 v2, s1, 0, v2, s1
	s_waitcnt vmcnt(0)
	v_fma_mix_f32 v13, v5, v18, v13 op_sel_hi:[0,1,0]
	s_or_b32 s38, s0, s38
	s_and_not1_b32 exec_lo, exec_lo, s38
	s_cbranch_execz .LBB40_3
.LBB40_14:                              ;   Parent Loop BB40_6 Depth=1
                                        ; =>  This Loop Header: Depth=2
                                        ;       Child Loop BB40_20 Depth 3
	global_load_u16 v18, v[1:2], off
	v_mad_u64_u32 v[3:4], null, v16, s9, s[16:17]
	v_mov_b32_e32 v5, 0
	s_mov_b32 s39, exec_lo
	s_delay_alu instid0(VALU_DEP_2)
	v_cmpx_lt_i32_e32 -1, v3
	s_cbranch_execz .LBB40_18
; %bb.15:                               ;   in Loop: Header=BB40_14 Depth=2
	v_mad_u64_u32 v[4:5], null, v17, s8, s[18:19]
	v_cmp_gt_i32_e64 s0, s23, v3
	v_mov_b32_e32 v5, 0
	s_delay_alu instid0(VALU_DEP_3) | instskip(SKIP_1) | instid1(VALU_DEP_2)
	v_cmp_gt_i32_e64 s1, s22, v4
	v_cmp_lt_i32_e64 s2, -1, v4
	s_and_b32 s0, s0, s1
	s_delay_alu instid0(VALU_DEP_1) | instid1(SALU_CYCLE_1)
	s_and_b32 s0, s0, s2
	s_delay_alu instid0(SALU_CYCLE_1)
	s_and_saveexec_b32 s1, s0
	s_cbranch_execz .LBB40_17
; %bb.16:                               ;   in Loop: Header=BB40_14 Depth=2
	v_mad_u64_u32 v[19:20], null, v4, s23, v[3:4]
	v_mov_b32_e32 v20, v9
	s_delay_alu instid0(VALU_DEP_1) | instskip(NEXT) | instid1(VALU_DEP_1)
	v_lshlrev_b64 v[3:4], 1, v[19:20]
	v_add_co_u32 v3, s0, v14, v3
	s_delay_alu instid0(VALU_DEP_1)
	v_add_co_ci_u32_e64 v4, s0, v15, v4, s0
	global_load_u16 v3, v[3:4], off
	s_waitcnt vmcnt(0)
	v_cvt_f32_f16_e32 v5, v3
.LBB40_17:                              ;   in Loop: Header=BB40_14 Depth=2
	s_or_b32 exec_lo, exec_lo, s1
.LBB40_18:                              ;   in Loop: Header=BB40_14 Depth=2
	s_delay_alu instid0(SALU_CYCLE_1) | instskip(SKIP_2) | instid1(VALU_DEP_1)
	s_or_b32 exec_lo, exec_lo, s39
	v_add_nc_u32_e32 v16, 32, v16
	s_mov_b32 s1, exec_lo
	v_cmpx_le_i32_e64 s27, v16
	s_cbranch_execz .LBB40_13
; %bb.19:                               ;   in Loop: Header=BB40_14 Depth=2
	s_mov_b32 s2, 0
.LBB40_20:                              ;   Parent Loop BB40_6 Depth=1
                                        ;     Parent Loop BB40_14 Depth=2
                                        ; =>    This Inner Loop Header: Depth=3
	v_subrev_nc_u32_e32 v16, s27, v16
	v_add_nc_u32_e32 v17, 1, v17
	s_delay_alu instid0(VALU_DEP_2) | instskip(NEXT) | instid1(VALU_DEP_1)
	v_cmp_gt_i32_e64 s0, s27, v16
	s_or_b32 s2, s0, s2
	s_delay_alu instid0(SALU_CYCLE_1)
	s_and_not1_b32 exec_lo, exec_lo, s2
	s_cbranch_execnz .LBB40_20
; %bb.21:                               ;   in Loop: Header=BB40_14 Depth=2
	s_or_b32 exec_lo, exec_lo, s2
	s_branch .LBB40_13
.LBB40_22:
	s_or_b32 exec_lo, exec_lo, s37
	v_cvt_f16_f32_e32 v2, v13
.LBB40_23:
	s_or_b32 exec_lo, exec_lo, s41
	v_lshl_add_u32 v1, v0, 1, 0
	s_bcnt1_i32_b32 s0, s24
	s_delay_alu instid0(SALU_CYCLE_1)
	s_cmp_lg_u32 s0, 1
	s_mov_b32 s0, -1
	ds_store_b16 v1, v2
	s_waitcnt lgkmcnt(0)
	s_barrier
	buffer_gl0_inv
	s_cbranch_scc1 .LBB40_32
; %bb.24:
	s_and_not1_b32 vcc_lo, exec_lo, s0
	s_cbranch_vccnz .LBB40_28
.LBB40_25:
	s_cmp_lt_u32 s24, 2
	s_cbranch_scc0 .LBB40_30
.LBB40_26:
	s_mov_b32 s0, exec_lo
	v_cmpx_eq_u32_e32 0, v0
	s_cbranch_execz .LBB40_28
; %bb.27:
	s_mul_i32 s0, s19, s33
	v_mov_b32_e32 v0, 0
	s_ashr_i32 s1, s0, 31
	s_mul_i32 s8, s4, s20
	s_lshl_b64 s[0:1], s[0:1], 1
	s_mul_i32 s4, s5, s17
	ds_load_u16 v1, v0
	s_add_u32 s2, s34, s0
	s_addc_u32 s7, s35, s1
	s_ashr_i32 s9, s8, 31
	s_delay_alu instid0(SALU_CYCLE_1) | instskip(NEXT) | instid1(SALU_CYCLE_1)
	s_lshl_b64 s[0:1], s[8:9], 1
	s_add_u32 s2, s2, s0
	s_addc_u32 s7, s7, s1
	s_ashr_i32 s5, s4, 31
	s_delay_alu instid0(SALU_CYCLE_1) | instskip(NEXT) | instid1(SALU_CYCLE_1)
	s_lshl_b64 s[0:1], s[4:5], 1
	s_add_u32 s2, s2, s0
	s_mul_i32 s0, s6, s3
	s_addc_u32 s3, s7, s1
	s_ashr_i32 s1, s0, 31
	s_delay_alu instid0(SALU_CYCLE_1) | instskip(NEXT) | instid1(SALU_CYCLE_1)
	s_lshl_b64 s[0:1], s[0:1], 1
	s_add_u32 s0, s2, s0
	s_addc_u32 s1, s3, s1
	s_waitcnt lgkmcnt(0)
	global_store_b16 v0, v1, s[0:1]
.LBB40_28:
	s_nop 0
	s_sendmsg sendmsg(MSG_DEALLOC_VGPRS)
	s_endpgm
	.p2align	6
.LBB40_29:                              ;   in Loop: Header=BB40_30 Depth=1
	s_or_b32 exec_lo, exec_lo, s1
	s_cmp_lt_u32 s24, 4
	s_mov_b32 s24, s0
	s_waitcnt lgkmcnt(0)
	s_barrier
	buffer_gl0_inv
	s_cbranch_scc1 .LBB40_26
.LBB40_30:                              ; =>This Inner Loop Header: Depth=1
	s_lshr_b32 s0, s24, 1
	s_mov_b32 s1, exec_lo
	v_cmpx_gt_u32_e64 s0, v0
	s_cbranch_execz .LBB40_29
; %bb.31:                               ;   in Loop: Header=BB40_30 Depth=1
	v_lshl_add_u32 v2, s0, 1, v1
	ds_load_u16 v2, v2
	ds_load_u16 v3, v1
	s_waitcnt lgkmcnt(0)
	v_add_f16_e32 v2, v2, v3
	ds_store_b16 v1, v2
	s_branch .LBB40_29
.LBB40_32:
	s_cbranch_execnz .LBB40_34
; %bb.33:
	; divergent unreachable
	s_cbranch_execz .LBB40_25
	s_branch .LBB40_28
.LBB40_34:
	s_trap 2
	s_sendmsg_rtn_b32 s0, sendmsg(MSG_RTN_GET_DOORBELL)
	s_mov_b32 ttmp2, m0
	s_waitcnt lgkmcnt(0)
	s_and_b32 s0, s0, 0x3ff
	s_delay_alu instid0(SALU_CYCLE_1) | instskip(NEXT) | instid1(SALU_CYCLE_1)
	s_bitset1_b32 s0, 10
	s_mov_b32 m0, s0
	s_sendmsg sendmsg(MSG_INTERRUPT)
	s_mov_b32 m0, ttmp2
.LBB40_35:                              ; =>This Inner Loop Header: Depth=1
	s_sethalt 5
	s_branch .LBB40_35
	.section	.rodata,"a",@progbits
	.p2align	6, 0x0
	.amdhsa_kernel _ZN2at6native12_GLOBAL__N_144conv_depthwise3d_cuda_backward_weight_kernelIN3c104HalfEfLin1ELin1EEEvN5torch10headeronly6detail27GenericPackedTensorAccessorINS7_14TensorAccessorINS3_8ArrayRefIlEEKT_Lm4ENS6_16DefaultPtrTraitsEiEENS_6detail16IndexBoundsCheckILm5EiEESD_Lm5ESE_iEESJ_NS8_INS9_ISB_SC_Lm4ESE_iEESI_SC_Lm5ESE_iEEiiiiiiiii
		.amdhsa_group_segment_fixed_size 0
		.amdhsa_private_segment_fixed_size 0
		.amdhsa_kernarg_size 440
		.amdhsa_user_sgpr_count 15
		.amdhsa_user_sgpr_dispatch_ptr 0
		.amdhsa_user_sgpr_queue_ptr 0
		.amdhsa_user_sgpr_kernarg_segment_ptr 1
		.amdhsa_user_sgpr_dispatch_id 0
		.amdhsa_user_sgpr_private_segment_size 0
		.amdhsa_wavefront_size32 1
		.amdhsa_uses_dynamic_stack 0
		.amdhsa_enable_private_segment 0
		.amdhsa_system_sgpr_workgroup_id_x 1
		.amdhsa_system_sgpr_workgroup_id_y 0
		.amdhsa_system_sgpr_workgroup_id_z 0
		.amdhsa_system_sgpr_workgroup_info 0
		.amdhsa_system_vgpr_workitem_id 0
		.amdhsa_next_free_vgpr 21
		.amdhsa_next_free_sgpr 48
		.amdhsa_reserve_vcc 1
		.amdhsa_float_round_mode_32 0
		.amdhsa_float_round_mode_16_64 0
		.amdhsa_float_denorm_mode_32 3
		.amdhsa_float_denorm_mode_16_64 3
		.amdhsa_dx10_clamp 1
		.amdhsa_ieee_mode 1
		.amdhsa_fp16_overflow 0
		.amdhsa_workgroup_processor_mode 1
		.amdhsa_memory_ordered 1
		.amdhsa_forward_progress 0
		.amdhsa_shared_vgpr_count 0
		.amdhsa_exception_fp_ieee_invalid_op 0
		.amdhsa_exception_fp_denorm_src 0
		.amdhsa_exception_fp_ieee_div_zero 0
		.amdhsa_exception_fp_ieee_overflow 0
		.amdhsa_exception_fp_ieee_underflow 0
		.amdhsa_exception_fp_ieee_inexact 0
		.amdhsa_exception_int_div_zero 0
	.end_amdhsa_kernel
	.section	.text._ZN2at6native12_GLOBAL__N_144conv_depthwise3d_cuda_backward_weight_kernelIN3c104HalfEfLin1ELin1EEEvN5torch10headeronly6detail27GenericPackedTensorAccessorINS7_14TensorAccessorINS3_8ArrayRefIlEEKT_Lm4ENS6_16DefaultPtrTraitsEiEENS_6detail16IndexBoundsCheckILm5EiEESD_Lm5ESE_iEESJ_NS8_INS9_ISB_SC_Lm4ESE_iEESI_SC_Lm5ESE_iEEiiiiiiiii,"axG",@progbits,_ZN2at6native12_GLOBAL__N_144conv_depthwise3d_cuda_backward_weight_kernelIN3c104HalfEfLin1ELin1EEEvN5torch10headeronly6detail27GenericPackedTensorAccessorINS7_14TensorAccessorINS3_8ArrayRefIlEEKT_Lm4ENS6_16DefaultPtrTraitsEiEENS_6detail16IndexBoundsCheckILm5EiEESD_Lm5ESE_iEESJ_NS8_INS9_ISB_SC_Lm4ESE_iEESI_SC_Lm5ESE_iEEiiiiiiiii,comdat
.Lfunc_end40:
	.size	_ZN2at6native12_GLOBAL__N_144conv_depthwise3d_cuda_backward_weight_kernelIN3c104HalfEfLin1ELin1EEEvN5torch10headeronly6detail27GenericPackedTensorAccessorINS7_14TensorAccessorINS3_8ArrayRefIlEEKT_Lm4ENS6_16DefaultPtrTraitsEiEENS_6detail16IndexBoundsCheckILm5EiEESD_Lm5ESE_iEESJ_NS8_INS9_ISB_SC_Lm4ESE_iEESI_SC_Lm5ESE_iEEiiiiiiiii, .Lfunc_end40-_ZN2at6native12_GLOBAL__N_144conv_depthwise3d_cuda_backward_weight_kernelIN3c104HalfEfLin1ELin1EEEvN5torch10headeronly6detail27GenericPackedTensorAccessorINS7_14TensorAccessorINS3_8ArrayRefIlEEKT_Lm4ENS6_16DefaultPtrTraitsEiEENS_6detail16IndexBoundsCheckILm5EiEESD_Lm5ESE_iEESJ_NS8_INS9_ISB_SC_Lm4ESE_iEESI_SC_Lm5ESE_iEEiiiiiiiii
                                        ; -- End function
	.section	.AMDGPU.csdata,"",@progbits
; Kernel info:
; codeLenInByte = 2260
; NumSgprs: 50
; NumVgprs: 21
; ScratchSize: 0
; MemoryBound: 0
; FloatMode: 240
; IeeeMode: 1
; LDSByteSize: 0 bytes/workgroup (compile time only)
; SGPRBlocks: 6
; VGPRBlocks: 2
; NumSGPRsForWavesPerEU: 50
; NumVGPRsForWavesPerEU: 21
; Occupancy: 16
; WaveLimiterHint : 1
; COMPUTE_PGM_RSRC2:SCRATCH_EN: 0
; COMPUTE_PGM_RSRC2:USER_SGPR: 15
; COMPUTE_PGM_RSRC2:TRAP_HANDLER: 0
; COMPUTE_PGM_RSRC2:TGID_X_EN: 1
; COMPUTE_PGM_RSRC2:TGID_Y_EN: 0
; COMPUTE_PGM_RSRC2:TGID_Z_EN: 0
; COMPUTE_PGM_RSRC2:TIDIG_COMP_CNT: 0
	.section	.text._ZN2at6native12_GLOBAL__N_144conv_depthwise3d_cuda_backward_weight_kernelIN3c108BFloat16EfLi1ELi1EEEvN5torch10headeronly6detail27GenericPackedTensorAccessorINS7_14TensorAccessorINS3_8ArrayRefIlEEKT_Lm4ENS6_16DefaultPtrTraitsEiEENS_6detail16IndexBoundsCheckILm5EiEESD_Lm5ESE_iEESJ_NS8_INS9_ISB_SC_Lm4ESE_iEESI_SC_Lm5ESE_iEEiiiiiiiii,"axG",@progbits,_ZN2at6native12_GLOBAL__N_144conv_depthwise3d_cuda_backward_weight_kernelIN3c108BFloat16EfLi1ELi1EEEvN5torch10headeronly6detail27GenericPackedTensorAccessorINS7_14TensorAccessorINS3_8ArrayRefIlEEKT_Lm4ENS6_16DefaultPtrTraitsEiEENS_6detail16IndexBoundsCheckILm5EiEESD_Lm5ESE_iEESJ_NS8_INS9_ISB_SC_Lm4ESE_iEESI_SC_Lm5ESE_iEEiiiiiiiii,comdat
	.globl	_ZN2at6native12_GLOBAL__N_144conv_depthwise3d_cuda_backward_weight_kernelIN3c108BFloat16EfLi1ELi1EEEvN5torch10headeronly6detail27GenericPackedTensorAccessorINS7_14TensorAccessorINS3_8ArrayRefIlEEKT_Lm4ENS6_16DefaultPtrTraitsEiEENS_6detail16IndexBoundsCheckILm5EiEESD_Lm5ESE_iEESJ_NS8_INS9_ISB_SC_Lm4ESE_iEESI_SC_Lm5ESE_iEEiiiiiiiii ; -- Begin function _ZN2at6native12_GLOBAL__N_144conv_depthwise3d_cuda_backward_weight_kernelIN3c108BFloat16EfLi1ELi1EEEvN5torch10headeronly6detail27GenericPackedTensorAccessorINS7_14TensorAccessorINS3_8ArrayRefIlEEKT_Lm4ENS6_16DefaultPtrTraitsEiEENS_6detail16IndexBoundsCheckILm5EiEESD_Lm5ESE_iEESJ_NS8_INS9_ISB_SC_Lm4ESE_iEESI_SC_Lm5ESE_iEEiiiiiiiii
	.p2align	8
	.type	_ZN2at6native12_GLOBAL__N_144conv_depthwise3d_cuda_backward_weight_kernelIN3c108BFloat16EfLi1ELi1EEEvN5torch10headeronly6detail27GenericPackedTensorAccessorINS7_14TensorAccessorINS3_8ArrayRefIlEEKT_Lm4ENS6_16DefaultPtrTraitsEiEENS_6detail16IndexBoundsCheckILm5EiEESD_Lm5ESE_iEESJ_NS8_INS9_ISB_SC_Lm4ESE_iEESI_SC_Lm5ESE_iEEiiiiiiiii,@function
_ZN2at6native12_GLOBAL__N_144conv_depthwise3d_cuda_backward_weight_kernelIN3c108BFloat16EfLi1ELi1EEEvN5torch10headeronly6detail27GenericPackedTensorAccessorINS7_14TensorAccessorINS3_8ArrayRefIlEEKT_Lm4ENS6_16DefaultPtrTraitsEiEENS_6detail16IndexBoundsCheckILm5EiEESD_Lm5ESE_iEESJ_NS8_INS9_ISB_SC_Lm4ESE_iEESI_SC_Lm5ESE_iEEiiiiiiiii: ; @_ZN2at6native12_GLOBAL__N_144conv_depthwise3d_cuda_backward_weight_kernelIN3c108BFloat16EfLi1ELi1EEEvN5torch10headeronly6detail27GenericPackedTensorAccessorINS7_14TensorAccessorINS3_8ArrayRefIlEEKT_Lm4ENS6_16DefaultPtrTraitsEiEENS_6detail16IndexBoundsCheckILm5EiEESD_Lm5ESE_iEESJ_NS8_INS9_ISB_SC_Lm4ESE_iEESI_SC_Lm5ESE_iEEiiiiiiiii
; %bb.0:
	s_load_b128 s[4:7], s[0:1], 0x70
	s_add_u32 s2, s0, 0x60
	s_addc_u32 s3, s1, 0
	s_clause 0x1
	s_load_b128 s[16:19], s[0:1], 0x3c
	s_load_b128 s[20:23], s[0:1], 0xc
	s_waitcnt lgkmcnt(0)
	v_cvt_f32_u32_e32 v1, s6
	v_cvt_f32_u32_e32 v2, s5
	s_sub_i32 s9, 0, s6
	s_delay_alu instid0(VALU_DEP_2) | instskip(NEXT) | instid1(VALU_DEP_1)
	v_rcp_iflag_f32_e32 v1, v1
	v_rcp_iflag_f32_e32 v2, v2
	s_waitcnt_depctr 0xfff
	v_dual_mul_f32 v1, 0x4f7ffffe, v1 :: v_dual_mul_f32 v2, 0x4f7ffffe, v2
	s_delay_alu instid0(VALU_DEP_1) | instskip(NEXT) | instid1(VALU_DEP_2)
	v_cvt_u32_f32_e32 v1, v1
	v_cvt_u32_f32_e32 v2, v2
	s_delay_alu instid0(VALU_DEP_2) | instskip(SKIP_1) | instid1(VALU_DEP_3)
	v_readfirstlane_b32 s8, v1
	v_cvt_f32_u32_e32 v1, s4
	v_readfirstlane_b32 s13, v2
	s_delay_alu instid0(VALU_DEP_3) | instskip(NEXT) | instid1(VALU_DEP_2)
	s_mul_i32 s9, s9, s8
	v_rcp_iflag_f32_e32 v1, v1
	s_mul_hi_u32 s9, s8, s9
	s_delay_alu instid0(SALU_CYCLE_1) | instskip(NEXT) | instid1(SALU_CYCLE_1)
	s_add_i32 s8, s8, s9
	s_mul_hi_u32 s8, s15, s8
	s_delay_alu instid0(SALU_CYCLE_1)
	s_mul_i32 s9, s8, s6
	s_add_i32 s10, s8, 1
	s_sub_i32 s9, s15, s9
	s_waitcnt_depctr 0xfff
	v_mul_f32_e32 v1, 0x4f7ffffe, v1
	s_sub_i32 s11, s9, s6
	s_cmp_ge_u32 s9, s6
	s_cselect_b32 s8, s10, s8
	s_cselect_b32 s9, s11, s9
	s_add_i32 s10, s8, 1
	s_cmp_ge_u32 s9, s6
	v_cvt_u32_f32_e32 v1, v1
	s_cselect_b32 s12, s10, s8
	s_sub_i32 s8, 0, s5
	s_delay_alu instid0(SALU_CYCLE_1) | instskip(NEXT) | instid1(VALU_DEP_1)
	s_mul_i32 s8, s8, s13
	v_readfirstlane_b32 s14, v1
	s_mul_hi_u32 s8, s13, s8
	s_delay_alu instid0(SALU_CYCLE_1) | instskip(NEXT) | instid1(SALU_CYCLE_1)
	s_add_i32 s13, s13, s8
	s_mul_hi_u32 s8, s12, s13
	s_delay_alu instid0(SALU_CYCLE_1) | instskip(SKIP_2) | instid1(SALU_CYCLE_1)
	s_mul_i32 s9, s8, s5
	s_add_i32 s10, s8, 1
	s_sub_i32 s9, s12, s9
	s_sub_i32 s11, s9, s5
	s_cmp_ge_u32 s9, s5
	s_cselect_b32 s8, s10, s8
	s_cselect_b32 s9, s11, s9
	s_add_i32 s10, s8, 1
	s_cmp_ge_u32 s9, s5
	s_cselect_b32 s13, s10, s8
	s_sub_i32 s8, 0, s4
	s_delay_alu instid0(SALU_CYCLE_1) | instskip(NEXT) | instid1(SALU_CYCLE_1)
	s_mul_i32 s8, s8, s14
	s_mul_hi_u32 s8, s14, s8
	s_delay_alu instid0(SALU_CYCLE_1) | instskip(NEXT) | instid1(SALU_CYCLE_1)
	s_add_i32 s14, s14, s8
	s_mul_hi_u32 s8, s13, s14
	s_delay_alu instid0(SALU_CYCLE_1) | instskip(SKIP_2) | instid1(SALU_CYCLE_1)
	s_mul_i32 s9, s8, s4
	s_add_i32 s10, s8, 1
	s_sub_i32 s9, s13, s9
	s_sub_i32 s11, s9, s4
	s_cmp_ge_u32 s9, s4
	s_cselect_b32 s8, s10, s8
	s_cselect_b32 s9, s11, s9
	s_add_i32 s10, s8, 1
	s_cmp_ge_u32 s9, s4
	s_cselect_b32 s33, s10, s8
	s_abs_i32 s8, s16
	s_abs_i32 s11, s20
	v_cvt_f32_u32_e32 v1, s8
	s_sub_i32 s10, 0, s8
	s_delay_alu instid0(VALU_DEP_1) | instskip(SKIP_2) | instid1(VALU_DEP_1)
	v_rcp_iflag_f32_e32 v1, v1
	s_waitcnt_depctr 0xfff
	v_mul_f32_e32 v1, 0x4f7ffffe, v1
	v_cvt_u32_f32_e32 v1, v1
	s_delay_alu instid0(VALU_DEP_1) | instskip(NEXT) | instid1(VALU_DEP_1)
	v_readfirstlane_b32 s9, v1
	s_mul_i32 s10, s10, s9
	s_delay_alu instid0(SALU_CYCLE_1) | instskip(NEXT) | instid1(SALU_CYCLE_1)
	s_mul_hi_u32 s10, s9, s10
	s_add_i32 s9, s9, s10
	s_xor_b32 s10, s20, s16
	s_mul_hi_u32 s9, s11, s9
	s_ashr_i32 s10, s10, 31
	s_mul_i32 s14, s9, s8
	s_delay_alu instid0(SALU_CYCLE_1)
	s_sub_i32 s11, s11, s14
	s_add_i32 s14, s9, 1
	s_sub_i32 s16, s11, s8
	s_cmp_ge_u32 s11, s8
	s_cselect_b32 s9, s14, s9
	s_cselect_b32 s11, s16, s11
	s_add_i32 s14, s9, 1
	s_cmp_ge_u32 s11, s8
	s_cselect_b32 s8, s14, s9
	s_delay_alu instid0(SALU_CYCLE_1) | instskip(NEXT) | instid1(SALU_CYCLE_1)
	s_xor_b32 s8, s8, s10
	s_sub_i32 s14, s8, s10
	s_load_b32 s8, s[0:1], 0x68
	s_abs_i32 s38, s14
	s_delay_alu instid0(SALU_CYCLE_1) | instskip(NEXT) | instid1(VALU_DEP_1)
	v_cvt_f32_u32_e32 v1, s38
	v_rcp_iflag_f32_e32 v1, v1
	s_waitcnt_depctr 0xfff
	v_mul_f32_e32 v1, 0x4f7ffffe, v1
	s_waitcnt lgkmcnt(0)
	s_cmp_ge_i32 s33, s8
	s_delay_alu instid0(VALU_DEP_1) | instskip(NEXT) | instid1(VALU_DEP_1)
	v_cvt_u32_f32_e32 v1, v1
	v_readfirstlane_b32 s24, v1
	s_cbranch_scc1 .LBB41_28
; %bb.1:
	s_clause 0x1
	s_load_b32 s20, s[0:1], 0x38
	s_load_b32 s16, s[0:1], 0xc4
	s_clause 0x1
	s_load_b64 s[34:35], s[2:3], 0x0
	s_load_b128 s[8:11], s[2:3], 0x24
	v_lshrrev_b32_e32 v4, 5, v0
	v_mov_b32_e32 v5, 0
	s_mul_i32 s2, s12, s6
	s_mul_i32 s5, s13, s5
	;; [unrolled: 1-line block ×3, first 2 shown]
	s_sub_i32 s3, s15, s2
	s_sub_i32 s5, s12, s5
	;; [unrolled: 1-line block ×3, first 2 shown]
	s_mov_b32 s36, exec_lo
	s_waitcnt lgkmcnt(0)
	s_mul_i32 s20, s20, s21
	s_and_b32 s16, s16, 0xffff
	v_cmpx_gt_i32_e64 s20, v4
	s_cbranch_execz .LBB41_23
; %bb.2:
	s_sub_i32 s2, 0, s38
	s_abs_i32 s26, s33
	s_mul_i32 s2, s2, s24
	s_ashr_i32 s25, s14, 31
	s_mul_hi_u32 s2, s24, s2
	s_clause 0x2
	s_load_b128 s[28:31], s[0:1], 0x9c
	s_load_b64 s[40:41], s[0:1], 0x0
	s_load_b128 s[12:15], s[0:1], 0x1c
	s_add_i32 s24, s24, s2
	s_ashr_i32 s4, s33, 31
	s_mul_hi_u32 s2, s26, s24
	s_lshr_b32 s37, s16, 5
	s_waitcnt lgkmcnt(0)
	s_mul_i32 s15, s2, s38
	s_xor_b32 s4, s4, s25
	s_sub_i32 s15, s26, s15
	s_add_i32 s39, s2, 1
	s_sub_i32 s42, s15, s38
	s_load_b128 s[24:27], s[0:1], 0x4c
	s_cmp_ge_u32 s15, s38
	s_cselect_b32 s2, s39, s2
	s_cselect_b32 s15, s42, s15
	s_waitcnt lgkmcnt(0)
	s_add_i32 s27, s2, 1
	s_cmp_ge_u32 s15, s38
	s_clause 0x1
	s_load_b64 s[38:39], s[0:1], 0x30
	s_load_b64 s[42:43], s[0:1], 0xac
	s_cselect_b32 s2, s27, s2
	s_mul_i32 s0, s13, s33
	s_xor_b32 s2, s2, s4
	s_ashr_i32 s1, s0, 31
	s_sub_i32 s2, s2, s4
	s_abs_i32 s45, s21
	s_mul_i32 s4, s6, s31
	s_lshl_b64 s[0:1], s[0:1], 1
	s_ashr_i32 s44, s21, 31
	s_sub_i32 s46, 0, s45
	s_sub_i32 s4, s4, s28
	s_add_u32 s13, s40, s0
	s_mul_i32 s0, s25, s2
	s_addc_u32 s15, s41, s1
	s_ashr_i32 s1, s0, 31
	v_cvt_f32_u32_e32 v1, s45
	s_lshl_b64 s[0:1], s[0:1], 1
	s_mov_b32 s28, 0
	s_waitcnt lgkmcnt(0)
	s_add_u32 s25, s38, s0
	s_addc_u32 s27, s39, s1
	s_abs_i32 s1, s23
	v_rcp_iflag_f32_e32 v1, v1
	v_cvt_f32_u32_e32 v2, s1
	s_sub_i32 s0, 0, s1
	s_delay_alu instid0(VALU_DEP_1) | instskip(SKIP_2) | instid1(VALU_DEP_1)
	v_rcp_iflag_f32_e32 v2, v2
	s_waitcnt_depctr 0xfff
	v_dual_mul_f32 v1, 0x4f7ffffe, v1 :: v_dual_mul_f32 v2, 0x4f7ffffe, v2
	v_cvt_u32_f32_e32 v1, v1
	s_delay_alu instid0(VALU_DEP_2) | instskip(NEXT) | instid1(VALU_DEP_2)
	v_cvt_u32_f32_e32 v2, v2
	v_mul_lo_u32 v3, s46, v1
	s_delay_alu instid0(VALU_DEP_2) | instskip(NEXT) | instid1(VALU_DEP_2)
	v_mul_lo_u32 v5, s0, v2
	v_mul_hi_u32 v3, v1, v3
	s_delay_alu instid0(VALU_DEP_2) | instskip(NEXT) | instid1(VALU_DEP_2)
	v_mul_hi_u32 v5, v2, v5
	v_add_nc_u32_e32 v1, v1, v3
	v_and_b32_e32 v3, 31, v0
	s_delay_alu instid0(VALU_DEP_2) | instskip(NEXT) | instid1(VALU_DEP_1)
	v_mul_hi_u32 v1, v4, v1
	v_add_nc_u32_e32 v7, 1, v1
	v_add_nc_u32_e32 v2, v2, v5
	v_mul_lo_u32 v5, v1, s45
	s_delay_alu instid0(VALU_DEP_1) | instskip(NEXT) | instid1(VALU_DEP_1)
	v_sub_nc_u32_e32 v5, v4, v5
	v_cmp_le_u32_e32 vcc_lo, s45, v5
	v_cndmask_b32_e32 v1, v1, v7, vcc_lo
	v_mul_hi_u32 v2, v3, v2
	v_subrev_nc_u32_e32 v7, s45, v5
	s_delay_alu instid0(VALU_DEP_1) | instskip(NEXT) | instid1(VALU_DEP_4)
	v_cndmask_b32_e32 v5, v5, v7, vcc_lo
	v_add_nc_u32_e32 v7, 1, v1
	s_delay_alu instid0(VALU_DEP_4) | instskip(SKIP_1) | instid1(VALU_DEP_4)
	v_mul_lo_u32 v6, v2, s1
	v_add_nc_u32_e32 v8, 1, v2
	v_cmp_le_u32_e32 vcc_lo, s45, v5
	v_mov_b32_e32 v5, 0
	s_delay_alu instid0(VALU_DEP_4) | instskip(SKIP_1) | instid1(VALU_DEP_2)
	v_sub_nc_u32_e32 v6, v3, v6
	v_cndmask_b32_e32 v1, v1, v7, vcc_lo
	v_subrev_nc_u32_e32 v9, s1, v6
	v_cmp_le_u32_e64 s0, s1, v6
	s_delay_alu instid0(VALU_DEP_3) | instskip(NEXT) | instid1(VALU_DEP_2)
	v_xor_b32_e32 v1, s44, v1
	v_cndmask_b32_e64 v2, v2, v8, s0
	s_delay_alu instid0(VALU_DEP_4) | instskip(SKIP_1) | instid1(VALU_DEP_2)
	v_cndmask_b32_e64 v6, v6, v9, s0
	s_ashr_i32 s0, s23, 31
	v_add_nc_u32_e32 v8, 1, v2
	s_delay_alu instid0(VALU_DEP_2) | instskip(SKIP_2) | instid1(SALU_CYCLE_1)
	v_cmp_le_u32_e32 vcc_lo, s1, v6
	v_subrev_nc_u32_e32 v6, s44, v1
	s_mul_i32 s1, s5, s42
	s_sub_i32 s29, s1, s29
	v_cndmask_b32_e32 v2, v2, v8, vcc_lo
	s_delay_alu instid0(VALU_DEP_2) | instskip(SKIP_1) | instid1(VALU_DEP_3)
	v_mul_lo_u32 v1, v6, s21
	v_dual_mov_b32 v8, 0 :: v_dual_lshlrev_b32 v9, 1, v3
	v_xor_b32_e32 v2, s0, v2
	s_delay_alu instid0(VALU_DEP_3) | instskip(NEXT) | instid1(VALU_DEP_2)
	v_sub_nc_u32_e32 v10, v4, v1
	v_subrev_nc_u32_e32 v7, s0, v2
	s_mul_i32 s0, s3, s43
	s_delay_alu instid0(SALU_CYCLE_1) | instskip(NEXT) | instid1(VALU_DEP_1)
	s_sub_i32 s30, s0, s30
	v_mul_lo_u32 v2, v7, s23
	v_cmp_gt_i32_e32 vcc_lo, s22, v7
	s_delay_alu instid0(VALU_DEP_2)
	v_sub_nc_u32_e32 v11, v3, v2
	s_branch .LBB41_6
.LBB41_3:                               ;   in Loop: Header=BB41_6 Depth=1
	s_or_b32 exec_lo, exec_lo, s39
.LBB41_4:                               ;   in Loop: Header=BB41_6 Depth=1
	s_delay_alu instid0(SALU_CYCLE_1)
	s_or_b32 exec_lo, exec_lo, s38
.LBB41_5:                               ;   in Loop: Header=BB41_6 Depth=1
	s_delay_alu instid0(SALU_CYCLE_1) | instskip(SKIP_2) | instid1(VALU_DEP_2)
	s_or_b32 exec_lo, exec_lo, s31
	v_add_nc_u32_e32 v4, s37, v4
	v_add_nc_u32_e32 v10, s37, v10
	v_cmp_le_i32_e64 s0, s20, v4
	s_delay_alu instid0(VALU_DEP_1) | instskip(NEXT) | instid1(SALU_CYCLE_1)
	s_or_b32 s28, s0, s28
	s_and_not1_b32 exec_lo, exec_lo, s28
	s_cbranch_execz .LBB41_22
.LBB41_6:                               ; =>This Loop Header: Depth=1
                                        ;     Child Loop BB41_8 Depth 2
                                        ;     Child Loop BB41_14 Depth 2
                                        ;       Child Loop BB41_20 Depth 3
	s_mov_b32 s1, exec_lo
	v_cmpx_le_i32_e64 s21, v10
	s_cbranch_execz .LBB41_10
; %bb.7:                                ;   in Loop: Header=BB41_6 Depth=1
	s_mov_b32 s2, 0
.LBB41_8:                               ;   Parent Loop BB41_6 Depth=1
                                        ; =>  This Inner Loop Header: Depth=2
	v_subrev_nc_u32_e32 v10, s21, v10
	v_add_nc_u32_e32 v6, 1, v6
	s_delay_alu instid0(VALU_DEP_2) | instskip(NEXT) | instid1(VALU_DEP_1)
	v_cmp_gt_i32_e64 s0, s21, v10
	s_or_b32 s2, s0, s2
	s_delay_alu instid0(SALU_CYCLE_1)
	s_and_not1_b32 exec_lo, exec_lo, s2
	s_cbranch_execnz .LBB41_8
; %bb.9:                                ;   in Loop: Header=BB41_6 Depth=1
	s_or_b32 exec_lo, exec_lo, s2
.LBB41_10:                              ;   in Loop: Header=BB41_6 Depth=1
	s_delay_alu instid0(SALU_CYCLE_1) | instskip(SKIP_1) | instid1(VALU_DEP_1)
	s_or_b32 exec_lo, exec_lo, s1
	v_mad_u64_u32 v[1:2], null, v10, s11, s[4:5]
	v_cmp_lt_i32_e64 s0, -1, v1
	v_cmp_gt_i32_e64 s1, s17, v1
	s_delay_alu instid0(VALU_DEP_1) | instskip(NEXT) | instid1(SALU_CYCLE_1)
	s_and_b32 s0, s0, s1
	s_and_saveexec_b32 s31, s0
	s_cbranch_execz .LBB41_5
; %bb.11:                               ;   in Loop: Header=BB41_6 Depth=1
	s_and_saveexec_b32 s38, vcc_lo
	s_cbranch_execz .LBB41_4
; %bb.12:                               ;   in Loop: Header=BB41_6 Depth=1
	v_mul_lo_u32 v2, s12, v6
	v_mul_lo_u32 v12, s24, v6
	;; [unrolled: 1-line block ×4, first 2 shown]
	s_mov_b32 s39, 0
	s_delay_alu instid0(VALU_DEP_4) | instskip(NEXT) | instid1(VALU_DEP_4)
	v_ashrrev_i32_e32 v3, 31, v2
	v_ashrrev_i32_e32 v13, 31, v12
	s_delay_alu instid0(VALU_DEP_4) | instskip(NEXT) | instid1(VALU_DEP_4)
	v_ashrrev_i32_e32 v17, 31, v16
	v_ashrrev_i32_e32 v15, 31, v14
	s_delay_alu instid0(VALU_DEP_4) | instskip(NEXT) | instid1(VALU_DEP_4)
	v_lshlrev_b64 v[1:2], 1, v[2:3]
	v_lshlrev_b64 v[12:13], 1, v[12:13]
	s_delay_alu instid0(VALU_DEP_4) | instskip(NEXT) | instid1(VALU_DEP_4)
	v_lshlrev_b64 v[16:17], 1, v[16:17]
	v_lshlrev_b64 v[14:15], 1, v[14:15]
	s_delay_alu instid0(VALU_DEP_4) | instskip(NEXT) | instid1(VALU_DEP_1)
	v_add_co_u32 v1, s0, s13, v1
	v_add_co_ci_u32_e64 v2, s0, s15, v2, s0
	v_add_co_u32 v3, s0, s25, v12
	s_delay_alu instid0(VALU_DEP_1) | instskip(NEXT) | instid1(VALU_DEP_4)
	v_add_co_ci_u32_e64 v13, s0, s27, v13, s0
	v_add_co_u32 v1, s0, v1, v16
	s_delay_alu instid0(VALU_DEP_1) | instskip(NEXT) | instid1(VALU_DEP_4)
	v_add_co_ci_u32_e64 v2, s0, v2, v17, s0
	v_add_co_u32 v12, s0, v3, v14
	s_delay_alu instid0(VALU_DEP_1) | instskip(NEXT) | instid1(VALU_DEP_4)
	v_add_co_ci_u32_e64 v13, s0, v13, v15, s0
	v_add_co_u32 v1, s0, v1, v9
	s_delay_alu instid0(VALU_DEP_1)
	v_add_co_ci_u32_e64 v2, s0, 0, v2, s0
	v_mov_b32_e32 v14, v11
	v_mov_b32_e32 v15, v7
	s_branch .LBB41_14
.LBB41_13:                              ;   in Loop: Header=BB41_14 Depth=2
	s_or_b32 exec_lo, exec_lo, s1
	s_waitcnt vmcnt(0)
	v_lshlrev_b32_e32 v3, 16, v16
	v_cmp_le_i32_e64 s0, s22, v15
	v_add_co_u32 v1, s1, v1, 64
	s_delay_alu instid0(VALU_DEP_1) | instskip(NEXT) | instid1(VALU_DEP_4)
	v_add_co_ci_u32_e64 v2, s1, 0, v2, s1
	v_fmac_f32_e32 v5, v17, v3
	s_delay_alu instid0(VALU_DEP_4) | instskip(NEXT) | instid1(SALU_CYCLE_1)
	s_or_b32 s39, s0, s39
	s_and_not1_b32 exec_lo, exec_lo, s39
	s_cbranch_execz .LBB41_3
.LBB41_14:                              ;   Parent Loop BB41_6 Depth=1
                                        ; =>  This Loop Header: Depth=2
                                        ;       Child Loop BB41_20 Depth 3
	global_load_u16 v16, v[1:2], off
	v_add_nc_u32_e32 v3, s30, v14
	v_mov_b32_e32 v17, 0
	s_mov_b32 s40, exec_lo
	s_delay_alu instid0(VALU_DEP_2)
	v_cmpx_lt_i32_e32 -1, v3
	s_cbranch_execz .LBB41_18
; %bb.15:                               ;   in Loop: Header=BB41_14 Depth=2
	v_dual_mov_b32 v17, 0 :: v_dual_add_nc_u32 v18, s29, v15
	v_cmp_gt_i32_e64 s0, s19, v3
	s_delay_alu instid0(VALU_DEP_2) | instskip(SKIP_1) | instid1(VALU_DEP_2)
	v_cmp_gt_i32_e64 s1, s18, v18
	v_cmp_lt_i32_e64 s2, -1, v18
	s_and_b32 s0, s0, s1
	s_delay_alu instid0(VALU_DEP_1) | instid1(SALU_CYCLE_1)
	s_and_b32 s0, s0, s2
	s_delay_alu instid0(SALU_CYCLE_1)
	s_and_saveexec_b32 s1, s0
	s_cbranch_execz .LBB41_17
; %bb.16:                               ;   in Loop: Header=BB41_14 Depth=2
	v_mad_u64_u32 v[19:20], null, v18, s19, v[3:4]
	v_mov_b32_e32 v20, v8
	s_delay_alu instid0(VALU_DEP_1) | instskip(NEXT) | instid1(VALU_DEP_1)
	v_lshlrev_b64 v[17:18], 1, v[19:20]
	v_add_co_u32 v17, s0, v12, v17
	s_delay_alu instid0(VALU_DEP_1)
	v_add_co_ci_u32_e64 v18, s0, v13, v18, s0
	global_load_u16 v3, v[17:18], off
	s_waitcnt vmcnt(0)
	v_lshlrev_b32_e32 v17, 16, v3
.LBB41_17:                              ;   in Loop: Header=BB41_14 Depth=2
	s_or_b32 exec_lo, exec_lo, s1
.LBB41_18:                              ;   in Loop: Header=BB41_14 Depth=2
	s_delay_alu instid0(SALU_CYCLE_1) | instskip(SKIP_2) | instid1(VALU_DEP_1)
	s_or_b32 exec_lo, exec_lo, s40
	v_add_nc_u32_e32 v14, 32, v14
	s_mov_b32 s1, exec_lo
	v_cmpx_le_i32_e64 s23, v14
	s_cbranch_execz .LBB41_13
; %bb.19:                               ;   in Loop: Header=BB41_14 Depth=2
	s_mov_b32 s2, 0
.LBB41_20:                              ;   Parent Loop BB41_6 Depth=1
                                        ;     Parent Loop BB41_14 Depth=2
                                        ; =>    This Inner Loop Header: Depth=3
	v_subrev_nc_u32_e32 v14, s23, v14
	v_add_nc_u32_e32 v15, 1, v15
	s_delay_alu instid0(VALU_DEP_2) | instskip(NEXT) | instid1(VALU_DEP_1)
	v_cmp_gt_i32_e64 s0, s23, v14
	s_or_b32 s2, s0, s2
	s_delay_alu instid0(SALU_CYCLE_1)
	s_and_not1_b32 exec_lo, exec_lo, s2
	s_cbranch_execnz .LBB41_20
; %bb.21:                               ;   in Loop: Header=BB41_14 Depth=2
	s_or_b32 exec_lo, exec_lo, s2
	s_branch .LBB41_13
.LBB41_22:
	s_or_b32 exec_lo, exec_lo, s28
.LBB41_23:
	s_delay_alu instid0(SALU_CYCLE_1)
	s_or_b32 exec_lo, exec_lo, s36
	v_bfe_u32 v1, v5, 16, 1
	v_cmp_o_f32_e32 vcc_lo, v5, v5
	s_bcnt1_i32_b32 s1, s16
	s_mov_b32 s0, -1
	s_cmp_lg_u32 s1, 1
	v_add3_u32 v1, v5, v1, 0x7fff
	s_delay_alu instid0(VALU_DEP_1) | instskip(SKIP_1) | instid1(VALU_DEP_2)
	v_lshrrev_b32_e32 v2, 16, v1
	v_lshl_add_u32 v1, v0, 1, 0
	v_cndmask_b32_e32 v2, 0x7fc0, v2, vcc_lo
	ds_store_b16 v1, v2
	s_waitcnt lgkmcnt(0)
	s_barrier
	buffer_gl0_inv
	s_cbranch_scc1 .LBB41_32
; %bb.24:
	s_and_not1_b32 vcc_lo, exec_lo, s0
	s_cbranch_vccnz .LBB41_28
.LBB41_25:
	s_cmp_lt_u32 s16, 2
	s_cbranch_scc0 .LBB41_30
.LBB41_26:
	s_mov_b32 s0, exec_lo
	v_cmpx_eq_u32_e32 0, v0
	s_cbranch_execz .LBB41_28
; %bb.27:
	s_mul_i32 s0, s7, s33
	v_mov_b32_e32 v0, 0
	s_ashr_i32 s1, s0, 31
	s_mul_i32 s6, s8, s6
	s_lshl_b64 s[0:1], s[0:1], 1
	s_mul_i32 s4, s9, s5
	ds_load_u16 v1, v0
	s_add_u32 s2, s34, s0
	s_addc_u32 s8, s35, s1
	s_ashr_i32 s7, s6, 31
	s_delay_alu instid0(SALU_CYCLE_1) | instskip(NEXT) | instid1(SALU_CYCLE_1)
	s_lshl_b64 s[0:1], s[6:7], 1
	s_add_u32 s2, s2, s0
	s_addc_u32 s6, s8, s1
	s_ashr_i32 s5, s4, 31
	s_delay_alu instid0(SALU_CYCLE_1) | instskip(NEXT) | instid1(SALU_CYCLE_1)
	s_lshl_b64 s[0:1], s[4:5], 1
	s_add_u32 s2, s2, s0
	s_mul_i32 s0, s10, s3
	s_addc_u32 s3, s6, s1
	s_ashr_i32 s1, s0, 31
	s_delay_alu instid0(SALU_CYCLE_1) | instskip(NEXT) | instid1(SALU_CYCLE_1)
	s_lshl_b64 s[0:1], s[0:1], 1
	s_add_u32 s0, s2, s0
	s_addc_u32 s1, s3, s1
	s_waitcnt lgkmcnt(0)
	global_store_b16 v0, v1, s[0:1]
.LBB41_28:
	s_nop 0
	s_sendmsg sendmsg(MSG_DEALLOC_VGPRS)
	s_endpgm
	.p2align	6
.LBB41_29:                              ;   in Loop: Header=BB41_30 Depth=1
	s_or_b32 exec_lo, exec_lo, s1
	s_cmp_lt_u32 s16, 4
	s_mov_b32 s16, s0
	s_waitcnt lgkmcnt(0)
	s_barrier
	buffer_gl0_inv
	s_cbranch_scc1 .LBB41_26
.LBB41_30:                              ; =>This Inner Loop Header: Depth=1
	s_lshr_b32 s0, s16, 1
	s_mov_b32 s1, exec_lo
	v_cmpx_gt_u32_e64 s0, v0
	s_cbranch_execz .LBB41_29
; %bb.31:                               ;   in Loop: Header=BB41_30 Depth=1
	v_lshl_add_u32 v2, s0, 1, v1
	ds_load_u16 v2, v2
	ds_load_u16 v3, v1
	s_waitcnt lgkmcnt(1)
	v_lshlrev_b32_e32 v2, 16, v2
	s_waitcnt lgkmcnt(0)
	v_lshlrev_b32_e32 v3, 16, v3
	s_delay_alu instid0(VALU_DEP_1) | instskip(NEXT) | instid1(VALU_DEP_1)
	v_add_f32_e32 v2, v2, v3
	v_bfe_u32 v3, v2, 16, 1
	v_cmp_o_f32_e32 vcc_lo, v2, v2
	s_delay_alu instid0(VALU_DEP_2) | instskip(NEXT) | instid1(VALU_DEP_1)
	v_add3_u32 v3, v2, v3, 0x7fff
	v_lshrrev_b32_e32 v3, 16, v3
	s_delay_alu instid0(VALU_DEP_1)
	v_cndmask_b32_e32 v2, 0x7fc0, v3, vcc_lo
	ds_store_b16 v1, v2
	s_branch .LBB41_29
.LBB41_32:
	s_cbranch_execnz .LBB41_34
; %bb.33:
	; divergent unreachable
	s_cbranch_execz .LBB41_25
	s_branch .LBB41_28
.LBB41_34:
	s_trap 2
	s_sendmsg_rtn_b32 s0, sendmsg(MSG_RTN_GET_DOORBELL)
	s_mov_b32 ttmp2, m0
	s_waitcnt lgkmcnt(0)
	s_and_b32 s0, s0, 0x3ff
	s_delay_alu instid0(SALU_CYCLE_1) | instskip(NEXT) | instid1(SALU_CYCLE_1)
	s_bitset1_b32 s0, 10
	s_mov_b32 m0, s0
	s_sendmsg sendmsg(MSG_INTERRUPT)
	s_mov_b32 m0, ttmp2
.LBB41_35:                              ; =>This Inner Loop Header: Depth=1
	s_sethalt 5
	s_branch .LBB41_35
	.section	.rodata,"a",@progbits
	.p2align	6, 0x0
	.amdhsa_kernel _ZN2at6native12_GLOBAL__N_144conv_depthwise3d_cuda_backward_weight_kernelIN3c108BFloat16EfLi1ELi1EEEvN5torch10headeronly6detail27GenericPackedTensorAccessorINS7_14TensorAccessorINS3_8ArrayRefIlEEKT_Lm4ENS6_16DefaultPtrTraitsEiEENS_6detail16IndexBoundsCheckILm5EiEESD_Lm5ESE_iEESJ_NS8_INS9_ISB_SC_Lm4ESE_iEESI_SC_Lm5ESE_iEEiiiiiiiii
		.amdhsa_group_segment_fixed_size 0
		.amdhsa_private_segment_fixed_size 0
		.amdhsa_kernarg_size 440
		.amdhsa_user_sgpr_count 15
		.amdhsa_user_sgpr_dispatch_ptr 0
		.amdhsa_user_sgpr_queue_ptr 0
		.amdhsa_user_sgpr_kernarg_segment_ptr 1
		.amdhsa_user_sgpr_dispatch_id 0
		.amdhsa_user_sgpr_private_segment_size 0
		.amdhsa_wavefront_size32 1
		.amdhsa_uses_dynamic_stack 0
		.amdhsa_enable_private_segment 0
		.amdhsa_system_sgpr_workgroup_id_x 1
		.amdhsa_system_sgpr_workgroup_id_y 0
		.amdhsa_system_sgpr_workgroup_id_z 0
		.amdhsa_system_sgpr_workgroup_info 0
		.amdhsa_system_vgpr_workitem_id 0
		.amdhsa_next_free_vgpr 21
		.amdhsa_next_free_sgpr 47
		.amdhsa_reserve_vcc 1
		.amdhsa_float_round_mode_32 0
		.amdhsa_float_round_mode_16_64 0
		.amdhsa_float_denorm_mode_32 3
		.amdhsa_float_denorm_mode_16_64 3
		.amdhsa_dx10_clamp 1
		.amdhsa_ieee_mode 1
		.amdhsa_fp16_overflow 0
		.amdhsa_workgroup_processor_mode 1
		.amdhsa_memory_ordered 1
		.amdhsa_forward_progress 0
		.amdhsa_shared_vgpr_count 0
		.amdhsa_exception_fp_ieee_invalid_op 0
		.amdhsa_exception_fp_denorm_src 0
		.amdhsa_exception_fp_ieee_div_zero 0
		.amdhsa_exception_fp_ieee_overflow 0
		.amdhsa_exception_fp_ieee_underflow 0
		.amdhsa_exception_fp_ieee_inexact 0
		.amdhsa_exception_int_div_zero 0
	.end_amdhsa_kernel
	.section	.text._ZN2at6native12_GLOBAL__N_144conv_depthwise3d_cuda_backward_weight_kernelIN3c108BFloat16EfLi1ELi1EEEvN5torch10headeronly6detail27GenericPackedTensorAccessorINS7_14TensorAccessorINS3_8ArrayRefIlEEKT_Lm4ENS6_16DefaultPtrTraitsEiEENS_6detail16IndexBoundsCheckILm5EiEESD_Lm5ESE_iEESJ_NS8_INS9_ISB_SC_Lm4ESE_iEESI_SC_Lm5ESE_iEEiiiiiiiii,"axG",@progbits,_ZN2at6native12_GLOBAL__N_144conv_depthwise3d_cuda_backward_weight_kernelIN3c108BFloat16EfLi1ELi1EEEvN5torch10headeronly6detail27GenericPackedTensorAccessorINS7_14TensorAccessorINS3_8ArrayRefIlEEKT_Lm4ENS6_16DefaultPtrTraitsEiEENS_6detail16IndexBoundsCheckILm5EiEESD_Lm5ESE_iEESJ_NS8_INS9_ISB_SC_Lm4ESE_iEESI_SC_Lm5ESE_iEEiiiiiiiii,comdat
.Lfunc_end41:
	.size	_ZN2at6native12_GLOBAL__N_144conv_depthwise3d_cuda_backward_weight_kernelIN3c108BFloat16EfLi1ELi1EEEvN5torch10headeronly6detail27GenericPackedTensorAccessorINS7_14TensorAccessorINS3_8ArrayRefIlEEKT_Lm4ENS6_16DefaultPtrTraitsEiEENS_6detail16IndexBoundsCheckILm5EiEESD_Lm5ESE_iEESJ_NS8_INS9_ISB_SC_Lm4ESE_iEESI_SC_Lm5ESE_iEEiiiiiiiii, .Lfunc_end41-_ZN2at6native12_GLOBAL__N_144conv_depthwise3d_cuda_backward_weight_kernelIN3c108BFloat16EfLi1ELi1EEEvN5torch10headeronly6detail27GenericPackedTensorAccessorINS7_14TensorAccessorINS3_8ArrayRefIlEEKT_Lm4ENS6_16DefaultPtrTraitsEiEENS_6detail16IndexBoundsCheckILm5EiEESD_Lm5ESE_iEESJ_NS8_INS9_ISB_SC_Lm4ESE_iEESI_SC_Lm5ESE_iEEiiiiiiiii
                                        ; -- End function
	.section	.AMDGPU.csdata,"",@progbits
; Kernel info:
; codeLenInByte = 2364
; NumSgprs: 49
; NumVgprs: 21
; ScratchSize: 0
; MemoryBound: 0
; FloatMode: 240
; IeeeMode: 1
; LDSByteSize: 0 bytes/workgroup (compile time only)
; SGPRBlocks: 6
; VGPRBlocks: 2
; NumSGPRsForWavesPerEU: 49
; NumVGPRsForWavesPerEU: 21
; Occupancy: 16
; WaveLimiterHint : 1
; COMPUTE_PGM_RSRC2:SCRATCH_EN: 0
; COMPUTE_PGM_RSRC2:USER_SGPR: 15
; COMPUTE_PGM_RSRC2:TRAP_HANDLER: 0
; COMPUTE_PGM_RSRC2:TGID_X_EN: 1
; COMPUTE_PGM_RSRC2:TGID_Y_EN: 0
; COMPUTE_PGM_RSRC2:TGID_Z_EN: 0
; COMPUTE_PGM_RSRC2:TIDIG_COMP_CNT: 0
	.section	.text._ZN2at6native12_GLOBAL__N_144conv_depthwise3d_cuda_backward_weight_kernelIN3c108BFloat16EfLi2ELi2EEEvN5torch10headeronly6detail27GenericPackedTensorAccessorINS7_14TensorAccessorINS3_8ArrayRefIlEEKT_Lm4ENS6_16DefaultPtrTraitsEiEENS_6detail16IndexBoundsCheckILm5EiEESD_Lm5ESE_iEESJ_NS8_INS9_ISB_SC_Lm4ESE_iEESI_SC_Lm5ESE_iEEiiiiiiiii,"axG",@progbits,_ZN2at6native12_GLOBAL__N_144conv_depthwise3d_cuda_backward_weight_kernelIN3c108BFloat16EfLi2ELi2EEEvN5torch10headeronly6detail27GenericPackedTensorAccessorINS7_14TensorAccessorINS3_8ArrayRefIlEEKT_Lm4ENS6_16DefaultPtrTraitsEiEENS_6detail16IndexBoundsCheckILm5EiEESD_Lm5ESE_iEESJ_NS8_INS9_ISB_SC_Lm4ESE_iEESI_SC_Lm5ESE_iEEiiiiiiiii,comdat
	.globl	_ZN2at6native12_GLOBAL__N_144conv_depthwise3d_cuda_backward_weight_kernelIN3c108BFloat16EfLi2ELi2EEEvN5torch10headeronly6detail27GenericPackedTensorAccessorINS7_14TensorAccessorINS3_8ArrayRefIlEEKT_Lm4ENS6_16DefaultPtrTraitsEiEENS_6detail16IndexBoundsCheckILm5EiEESD_Lm5ESE_iEESJ_NS8_INS9_ISB_SC_Lm4ESE_iEESI_SC_Lm5ESE_iEEiiiiiiiii ; -- Begin function _ZN2at6native12_GLOBAL__N_144conv_depthwise3d_cuda_backward_weight_kernelIN3c108BFloat16EfLi2ELi2EEEvN5torch10headeronly6detail27GenericPackedTensorAccessorINS7_14TensorAccessorINS3_8ArrayRefIlEEKT_Lm4ENS6_16DefaultPtrTraitsEiEENS_6detail16IndexBoundsCheckILm5EiEESD_Lm5ESE_iEESJ_NS8_INS9_ISB_SC_Lm4ESE_iEESI_SC_Lm5ESE_iEEiiiiiiiii
	.p2align	8
	.type	_ZN2at6native12_GLOBAL__N_144conv_depthwise3d_cuda_backward_weight_kernelIN3c108BFloat16EfLi2ELi2EEEvN5torch10headeronly6detail27GenericPackedTensorAccessorINS7_14TensorAccessorINS3_8ArrayRefIlEEKT_Lm4ENS6_16DefaultPtrTraitsEiEENS_6detail16IndexBoundsCheckILm5EiEESD_Lm5ESE_iEESJ_NS8_INS9_ISB_SC_Lm4ESE_iEESI_SC_Lm5ESE_iEEiiiiiiiii,@function
_ZN2at6native12_GLOBAL__N_144conv_depthwise3d_cuda_backward_weight_kernelIN3c108BFloat16EfLi2ELi2EEEvN5torch10headeronly6detail27GenericPackedTensorAccessorINS7_14TensorAccessorINS3_8ArrayRefIlEEKT_Lm4ENS6_16DefaultPtrTraitsEiEENS_6detail16IndexBoundsCheckILm5EiEESD_Lm5ESE_iEESJ_NS8_INS9_ISB_SC_Lm4ESE_iEESI_SC_Lm5ESE_iEEiiiiiiiii: ; @_ZN2at6native12_GLOBAL__N_144conv_depthwise3d_cuda_backward_weight_kernelIN3c108BFloat16EfLi2ELi2EEEvN5torch10headeronly6detail27GenericPackedTensorAccessorINS7_14TensorAccessorINS3_8ArrayRefIlEEKT_Lm4ENS6_16DefaultPtrTraitsEiEENS_6detail16IndexBoundsCheckILm5EiEESD_Lm5ESE_iEESJ_NS8_INS9_ISB_SC_Lm4ESE_iEESI_SC_Lm5ESE_iEEiiiiiiiii
; %bb.0:
	s_load_b128 s[4:7], s[0:1], 0x70
	s_add_u32 s2, s0, 0x60
	s_addc_u32 s3, s1, 0
	s_clause 0x1
	s_load_b128 s[16:19], s[0:1], 0x3c
	s_load_b128 s[20:23], s[0:1], 0xc
	s_waitcnt lgkmcnt(0)
	v_cvt_f32_u32_e32 v1, s6
	v_cvt_f32_u32_e32 v2, s5
	s_sub_i32 s9, 0, s6
	s_delay_alu instid0(VALU_DEP_2) | instskip(NEXT) | instid1(VALU_DEP_1)
	v_rcp_iflag_f32_e32 v1, v1
	v_rcp_iflag_f32_e32 v2, v2
	s_waitcnt_depctr 0xfff
	v_dual_mul_f32 v1, 0x4f7ffffe, v1 :: v_dual_mul_f32 v2, 0x4f7ffffe, v2
	s_delay_alu instid0(VALU_DEP_1) | instskip(NEXT) | instid1(VALU_DEP_2)
	v_cvt_u32_f32_e32 v1, v1
	v_cvt_u32_f32_e32 v2, v2
	s_delay_alu instid0(VALU_DEP_2) | instskip(SKIP_1) | instid1(VALU_DEP_3)
	v_readfirstlane_b32 s8, v1
	v_cvt_f32_u32_e32 v1, s4
	v_readfirstlane_b32 s13, v2
	s_delay_alu instid0(VALU_DEP_3) | instskip(NEXT) | instid1(VALU_DEP_2)
	s_mul_i32 s9, s9, s8
	v_rcp_iflag_f32_e32 v1, v1
	s_mul_hi_u32 s9, s8, s9
	s_delay_alu instid0(SALU_CYCLE_1) | instskip(NEXT) | instid1(SALU_CYCLE_1)
	s_add_i32 s8, s8, s9
	s_mul_hi_u32 s8, s15, s8
	s_delay_alu instid0(SALU_CYCLE_1)
	s_mul_i32 s9, s8, s6
	s_add_i32 s10, s8, 1
	s_sub_i32 s9, s15, s9
	s_waitcnt_depctr 0xfff
	v_mul_f32_e32 v1, 0x4f7ffffe, v1
	s_sub_i32 s11, s9, s6
	s_cmp_ge_u32 s9, s6
	s_cselect_b32 s8, s10, s8
	s_cselect_b32 s9, s11, s9
	s_add_i32 s10, s8, 1
	s_cmp_ge_u32 s9, s6
	v_cvt_u32_f32_e32 v1, v1
	s_cselect_b32 s12, s10, s8
	s_sub_i32 s8, 0, s5
	s_delay_alu instid0(SALU_CYCLE_1) | instskip(NEXT) | instid1(VALU_DEP_1)
	s_mul_i32 s8, s8, s13
	v_readfirstlane_b32 s14, v1
	s_mul_hi_u32 s8, s13, s8
	s_delay_alu instid0(SALU_CYCLE_1) | instskip(NEXT) | instid1(SALU_CYCLE_1)
	s_add_i32 s13, s13, s8
	s_mul_hi_u32 s8, s12, s13
	s_delay_alu instid0(SALU_CYCLE_1) | instskip(SKIP_2) | instid1(SALU_CYCLE_1)
	s_mul_i32 s9, s8, s5
	s_add_i32 s10, s8, 1
	s_sub_i32 s9, s12, s9
	s_sub_i32 s11, s9, s5
	s_cmp_ge_u32 s9, s5
	s_cselect_b32 s8, s10, s8
	s_cselect_b32 s9, s11, s9
	s_add_i32 s10, s8, 1
	s_cmp_ge_u32 s9, s5
	s_cselect_b32 s13, s10, s8
	s_sub_i32 s8, 0, s4
	s_delay_alu instid0(SALU_CYCLE_1) | instskip(NEXT) | instid1(SALU_CYCLE_1)
	s_mul_i32 s8, s8, s14
	s_mul_hi_u32 s8, s14, s8
	s_delay_alu instid0(SALU_CYCLE_1) | instskip(NEXT) | instid1(SALU_CYCLE_1)
	s_add_i32 s14, s14, s8
	s_mul_hi_u32 s8, s13, s14
	s_delay_alu instid0(SALU_CYCLE_1) | instskip(SKIP_2) | instid1(SALU_CYCLE_1)
	s_mul_i32 s9, s8, s4
	s_add_i32 s10, s8, 1
	s_sub_i32 s9, s13, s9
	s_sub_i32 s11, s9, s4
	s_cmp_ge_u32 s9, s4
	s_cselect_b32 s8, s10, s8
	s_cselect_b32 s9, s11, s9
	s_add_i32 s10, s8, 1
	s_cmp_ge_u32 s9, s4
	s_cselect_b32 s33, s10, s8
	s_abs_i32 s8, s16
	s_abs_i32 s11, s20
	v_cvt_f32_u32_e32 v1, s8
	s_sub_i32 s10, 0, s8
	s_delay_alu instid0(VALU_DEP_1) | instskip(SKIP_2) | instid1(VALU_DEP_1)
	v_rcp_iflag_f32_e32 v1, v1
	s_waitcnt_depctr 0xfff
	v_mul_f32_e32 v1, 0x4f7ffffe, v1
	v_cvt_u32_f32_e32 v1, v1
	s_delay_alu instid0(VALU_DEP_1) | instskip(NEXT) | instid1(VALU_DEP_1)
	v_readfirstlane_b32 s9, v1
	s_mul_i32 s10, s10, s9
	s_delay_alu instid0(SALU_CYCLE_1) | instskip(NEXT) | instid1(SALU_CYCLE_1)
	s_mul_hi_u32 s10, s9, s10
	s_add_i32 s9, s9, s10
	s_xor_b32 s10, s20, s16
	s_mul_hi_u32 s9, s11, s9
	s_ashr_i32 s10, s10, 31
	s_mul_i32 s14, s9, s8
	s_delay_alu instid0(SALU_CYCLE_1)
	s_sub_i32 s11, s11, s14
	s_add_i32 s14, s9, 1
	s_sub_i32 s16, s11, s8
	s_cmp_ge_u32 s11, s8
	s_cselect_b32 s9, s14, s9
	s_cselect_b32 s11, s16, s11
	s_add_i32 s14, s9, 1
	s_cmp_ge_u32 s11, s8
	s_cselect_b32 s8, s14, s9
	s_delay_alu instid0(SALU_CYCLE_1) | instskip(NEXT) | instid1(SALU_CYCLE_1)
	s_xor_b32 s8, s8, s10
	s_sub_i32 s14, s8, s10
	s_load_b32 s8, s[0:1], 0x68
	s_abs_i32 s38, s14
	s_delay_alu instid0(SALU_CYCLE_1) | instskip(NEXT) | instid1(VALU_DEP_1)
	v_cvt_f32_u32_e32 v1, s38
	v_rcp_iflag_f32_e32 v1, v1
	s_waitcnt_depctr 0xfff
	v_mul_f32_e32 v1, 0x4f7ffffe, v1
	s_waitcnt lgkmcnt(0)
	s_cmp_ge_i32 s33, s8
	s_delay_alu instid0(VALU_DEP_1) | instskip(NEXT) | instid1(VALU_DEP_1)
	v_cvt_u32_f32_e32 v1, v1
	v_readfirstlane_b32 s24, v1
	s_cbranch_scc1 .LBB42_28
; %bb.1:
	s_clause 0x1
	s_load_b32 s20, s[0:1], 0x38
	s_load_b32 s16, s[0:1], 0xc4
	s_clause 0x1
	s_load_b64 s[34:35], s[2:3], 0x0
	s_load_b128 s[8:11], s[2:3], 0x24
	v_lshrrev_b32_e32 v4, 5, v0
	v_mov_b32_e32 v5, 0
	s_mul_i32 s2, s12, s6
	s_mul_i32 s5, s13, s5
	;; [unrolled: 1-line block ×3, first 2 shown]
	s_sub_i32 s3, s15, s2
	s_sub_i32 s5, s12, s5
	;; [unrolled: 1-line block ×3, first 2 shown]
	s_mov_b32 s36, exec_lo
	s_waitcnt lgkmcnt(0)
	s_mul_i32 s20, s20, s21
	s_and_b32 s16, s16, 0xffff
	v_cmpx_gt_i32_e64 s20, v4
	s_cbranch_execz .LBB42_23
; %bb.2:
	s_sub_i32 s2, 0, s38
	s_abs_i32 s26, s33
	s_mul_i32 s2, s2, s24
	s_ashr_i32 s25, s14, 31
	s_mul_hi_u32 s2, s24, s2
	s_clause 0x2
	s_load_b128 s[28:31], s[0:1], 0x9c
	s_load_b64 s[40:41], s[0:1], 0x0
	s_load_b128 s[12:15], s[0:1], 0x1c
	s_add_i32 s24, s24, s2
	s_ashr_i32 s4, s33, 31
	s_mul_hi_u32 s2, s26, s24
	s_lshr_b32 s37, s16, 5
	s_waitcnt lgkmcnt(0)
	s_mul_i32 s15, s2, s38
	s_xor_b32 s4, s4, s25
	s_sub_i32 s15, s26, s15
	s_add_i32 s39, s2, 1
	s_sub_i32 s42, s15, s38
	s_load_b128 s[24:27], s[0:1], 0x4c
	s_cmp_ge_u32 s15, s38
	s_cselect_b32 s2, s39, s2
	s_cselect_b32 s15, s42, s15
	s_waitcnt lgkmcnt(0)
	s_add_i32 s27, s2, 1
	s_cmp_ge_u32 s15, s38
	s_clause 0x1
	s_load_b64 s[38:39], s[0:1], 0x30
	s_load_b64 s[42:43], s[0:1], 0xac
	s_cselect_b32 s2, s27, s2
	s_mul_i32 s0, s13, s33
	s_xor_b32 s2, s2, s4
	s_ashr_i32 s1, s0, 31
	s_sub_i32 s2, s2, s4
	s_abs_i32 s45, s21
	s_mul_i32 s4, s6, s31
	s_lshl_b64 s[0:1], s[0:1], 1
	s_ashr_i32 s44, s21, 31
	s_sub_i32 s46, 0, s45
	s_sub_i32 s4, s4, s28
	s_add_u32 s13, s40, s0
	s_mul_i32 s0, s25, s2
	s_addc_u32 s15, s41, s1
	s_ashr_i32 s1, s0, 31
	v_cvt_f32_u32_e32 v1, s45
	s_lshl_b64 s[0:1], s[0:1], 1
	s_mov_b32 s28, 0
	s_waitcnt lgkmcnt(0)
	s_add_u32 s25, s38, s0
	s_addc_u32 s27, s39, s1
	s_abs_i32 s1, s23
	v_rcp_iflag_f32_e32 v1, v1
	v_cvt_f32_u32_e32 v2, s1
	s_sub_i32 s0, 0, s1
	s_delay_alu instid0(VALU_DEP_1) | instskip(SKIP_2) | instid1(VALU_DEP_1)
	v_rcp_iflag_f32_e32 v2, v2
	s_waitcnt_depctr 0xfff
	v_dual_mul_f32 v1, 0x4f7ffffe, v1 :: v_dual_mul_f32 v2, 0x4f7ffffe, v2
	v_cvt_u32_f32_e32 v1, v1
	s_delay_alu instid0(VALU_DEP_2) | instskip(NEXT) | instid1(VALU_DEP_2)
	v_cvt_u32_f32_e32 v2, v2
	v_mul_lo_u32 v3, s46, v1
	s_delay_alu instid0(VALU_DEP_2) | instskip(NEXT) | instid1(VALU_DEP_2)
	v_mul_lo_u32 v5, s0, v2
	v_mul_hi_u32 v3, v1, v3
	s_delay_alu instid0(VALU_DEP_2) | instskip(NEXT) | instid1(VALU_DEP_2)
	v_mul_hi_u32 v5, v2, v5
	v_add_nc_u32_e32 v1, v1, v3
	v_and_b32_e32 v3, 31, v0
	s_delay_alu instid0(VALU_DEP_2) | instskip(NEXT) | instid1(VALU_DEP_1)
	v_mul_hi_u32 v1, v4, v1
	v_add_nc_u32_e32 v7, 1, v1
	v_add_nc_u32_e32 v2, v2, v5
	v_mul_lo_u32 v5, v1, s45
	s_delay_alu instid0(VALU_DEP_1) | instskip(NEXT) | instid1(VALU_DEP_1)
	v_sub_nc_u32_e32 v5, v4, v5
	v_cmp_le_u32_e32 vcc_lo, s45, v5
	v_cndmask_b32_e32 v1, v1, v7, vcc_lo
	v_mul_hi_u32 v2, v3, v2
	v_subrev_nc_u32_e32 v7, s45, v5
	s_delay_alu instid0(VALU_DEP_1) | instskip(NEXT) | instid1(VALU_DEP_4)
	v_cndmask_b32_e32 v5, v5, v7, vcc_lo
	v_add_nc_u32_e32 v7, 1, v1
	s_delay_alu instid0(VALU_DEP_4) | instskip(SKIP_1) | instid1(VALU_DEP_4)
	v_mul_lo_u32 v6, v2, s1
	v_add_nc_u32_e32 v8, 1, v2
	v_cmp_le_u32_e32 vcc_lo, s45, v5
	v_mov_b32_e32 v5, 0
	s_delay_alu instid0(VALU_DEP_4) | instskip(SKIP_1) | instid1(VALU_DEP_2)
	v_sub_nc_u32_e32 v6, v3, v6
	v_cndmask_b32_e32 v1, v1, v7, vcc_lo
	v_subrev_nc_u32_e32 v9, s1, v6
	v_cmp_le_u32_e64 s0, s1, v6
	s_delay_alu instid0(VALU_DEP_3) | instskip(NEXT) | instid1(VALU_DEP_2)
	v_xor_b32_e32 v1, s44, v1
	v_cndmask_b32_e64 v2, v2, v8, s0
	s_delay_alu instid0(VALU_DEP_4) | instskip(SKIP_1) | instid1(VALU_DEP_2)
	v_cndmask_b32_e64 v6, v6, v9, s0
	s_ashr_i32 s0, s23, 31
	v_add_nc_u32_e32 v8, 1, v2
	s_delay_alu instid0(VALU_DEP_2) | instskip(SKIP_2) | instid1(SALU_CYCLE_1)
	v_cmp_le_u32_e32 vcc_lo, s1, v6
	v_subrev_nc_u32_e32 v6, s44, v1
	s_mul_i32 s1, s5, s42
	s_sub_i32 s29, s1, s29
	v_cndmask_b32_e32 v2, v2, v8, vcc_lo
	s_delay_alu instid0(VALU_DEP_2) | instskip(SKIP_1) | instid1(VALU_DEP_3)
	v_mul_lo_u32 v1, v6, s21
	v_dual_mov_b32 v8, 0 :: v_dual_lshlrev_b32 v9, 1, v3
	v_xor_b32_e32 v2, s0, v2
	s_delay_alu instid0(VALU_DEP_3) | instskip(NEXT) | instid1(VALU_DEP_2)
	v_sub_nc_u32_e32 v10, v4, v1
	v_subrev_nc_u32_e32 v7, s0, v2
	s_mul_i32 s0, s3, s43
	s_delay_alu instid0(SALU_CYCLE_1) | instskip(NEXT) | instid1(VALU_DEP_1)
	s_sub_i32 s30, s0, s30
	v_mul_lo_u32 v2, v7, s23
	v_cmp_gt_i32_e32 vcc_lo, s22, v7
	s_delay_alu instid0(VALU_DEP_2)
	v_sub_nc_u32_e32 v11, v3, v2
	s_branch .LBB42_6
.LBB42_3:                               ;   in Loop: Header=BB42_6 Depth=1
	s_or_b32 exec_lo, exec_lo, s39
.LBB42_4:                               ;   in Loop: Header=BB42_6 Depth=1
	s_delay_alu instid0(SALU_CYCLE_1)
	s_or_b32 exec_lo, exec_lo, s38
.LBB42_5:                               ;   in Loop: Header=BB42_6 Depth=1
	s_delay_alu instid0(SALU_CYCLE_1) | instskip(SKIP_2) | instid1(VALU_DEP_2)
	s_or_b32 exec_lo, exec_lo, s31
	v_add_nc_u32_e32 v4, s37, v4
	v_add_nc_u32_e32 v10, s37, v10
	v_cmp_le_i32_e64 s0, s20, v4
	s_delay_alu instid0(VALU_DEP_1) | instskip(NEXT) | instid1(SALU_CYCLE_1)
	s_or_b32 s28, s0, s28
	s_and_not1_b32 exec_lo, exec_lo, s28
	s_cbranch_execz .LBB42_22
.LBB42_6:                               ; =>This Loop Header: Depth=1
                                        ;     Child Loop BB42_8 Depth 2
                                        ;     Child Loop BB42_14 Depth 2
                                        ;       Child Loop BB42_20 Depth 3
	s_mov_b32 s1, exec_lo
	v_cmpx_le_i32_e64 s21, v10
	s_cbranch_execz .LBB42_10
; %bb.7:                                ;   in Loop: Header=BB42_6 Depth=1
	s_mov_b32 s2, 0
.LBB42_8:                               ;   Parent Loop BB42_6 Depth=1
                                        ; =>  This Inner Loop Header: Depth=2
	v_subrev_nc_u32_e32 v10, s21, v10
	v_add_nc_u32_e32 v6, 1, v6
	s_delay_alu instid0(VALU_DEP_2) | instskip(NEXT) | instid1(VALU_DEP_1)
	v_cmp_gt_i32_e64 s0, s21, v10
	s_or_b32 s2, s0, s2
	s_delay_alu instid0(SALU_CYCLE_1)
	s_and_not1_b32 exec_lo, exec_lo, s2
	s_cbranch_execnz .LBB42_8
; %bb.9:                                ;   in Loop: Header=BB42_6 Depth=1
	s_or_b32 exec_lo, exec_lo, s2
.LBB42_10:                              ;   in Loop: Header=BB42_6 Depth=1
	s_delay_alu instid0(SALU_CYCLE_1) | instskip(SKIP_1) | instid1(VALU_DEP_1)
	s_or_b32 exec_lo, exec_lo, s1
	v_mad_u64_u32 v[1:2], null, v10, s11, s[4:5]
	v_cmp_lt_i32_e64 s0, -1, v1
	v_cmp_gt_i32_e64 s1, s17, v1
	s_delay_alu instid0(VALU_DEP_1) | instskip(NEXT) | instid1(SALU_CYCLE_1)
	s_and_b32 s0, s0, s1
	s_and_saveexec_b32 s31, s0
	s_cbranch_execz .LBB42_5
; %bb.11:                               ;   in Loop: Header=BB42_6 Depth=1
	s_and_saveexec_b32 s38, vcc_lo
	s_cbranch_execz .LBB42_4
; %bb.12:                               ;   in Loop: Header=BB42_6 Depth=1
	v_mul_lo_u32 v2, s12, v6
	v_mul_lo_u32 v12, s24, v6
	;; [unrolled: 1-line block ×4, first 2 shown]
	s_mov_b32 s39, 0
	s_delay_alu instid0(VALU_DEP_4) | instskip(NEXT) | instid1(VALU_DEP_4)
	v_ashrrev_i32_e32 v3, 31, v2
	v_ashrrev_i32_e32 v13, 31, v12
	s_delay_alu instid0(VALU_DEP_4) | instskip(NEXT) | instid1(VALU_DEP_4)
	v_ashrrev_i32_e32 v17, 31, v16
	v_ashrrev_i32_e32 v15, 31, v14
	s_delay_alu instid0(VALU_DEP_4) | instskip(NEXT) | instid1(VALU_DEP_4)
	v_lshlrev_b64 v[1:2], 1, v[2:3]
	v_lshlrev_b64 v[12:13], 1, v[12:13]
	s_delay_alu instid0(VALU_DEP_4) | instskip(NEXT) | instid1(VALU_DEP_4)
	v_lshlrev_b64 v[16:17], 1, v[16:17]
	v_lshlrev_b64 v[14:15], 1, v[14:15]
	s_delay_alu instid0(VALU_DEP_4) | instskip(NEXT) | instid1(VALU_DEP_1)
	v_add_co_u32 v1, s0, s13, v1
	v_add_co_ci_u32_e64 v2, s0, s15, v2, s0
	v_add_co_u32 v3, s0, s25, v12
	s_delay_alu instid0(VALU_DEP_1) | instskip(NEXT) | instid1(VALU_DEP_4)
	v_add_co_ci_u32_e64 v13, s0, s27, v13, s0
	v_add_co_u32 v1, s0, v1, v16
	s_delay_alu instid0(VALU_DEP_1) | instskip(NEXT) | instid1(VALU_DEP_4)
	;; [unrolled: 3-line block ×3, first 2 shown]
	v_add_co_ci_u32_e64 v13, s0, v13, v15, s0
	v_add_co_u32 v1, s0, v1, v9
	s_delay_alu instid0(VALU_DEP_1)
	v_add_co_ci_u32_e64 v2, s0, 0, v2, s0
	v_mov_b32_e32 v14, v11
	v_mov_b32_e32 v15, v7
	s_branch .LBB42_14
.LBB42_13:                              ;   in Loop: Header=BB42_14 Depth=2
	s_or_b32 exec_lo, exec_lo, s1
	s_waitcnt vmcnt(0)
	v_lshlrev_b32_e32 v3, 16, v16
	v_cmp_le_i32_e64 s0, s22, v15
	v_add_co_u32 v1, s1, v1, 64
	s_delay_alu instid0(VALU_DEP_1) | instskip(NEXT) | instid1(VALU_DEP_4)
	v_add_co_ci_u32_e64 v2, s1, 0, v2, s1
	v_fmac_f32_e32 v5, v17, v3
	s_delay_alu instid0(VALU_DEP_4) | instskip(NEXT) | instid1(SALU_CYCLE_1)
	s_or_b32 s39, s0, s39
	s_and_not1_b32 exec_lo, exec_lo, s39
	s_cbranch_execz .LBB42_3
.LBB42_14:                              ;   Parent Loop BB42_6 Depth=1
                                        ; =>  This Loop Header: Depth=2
                                        ;       Child Loop BB42_20 Depth 3
	global_load_u16 v16, v[1:2], off
	v_lshl_add_u32 v3, v14, 1, s30
	v_mov_b32_e32 v17, 0
	s_mov_b32 s40, exec_lo
	s_delay_alu instid0(VALU_DEP_2)
	v_cmpx_lt_i32_e32 -1, v3
	s_cbranch_execz .LBB42_18
; %bb.15:                               ;   in Loop: Header=BB42_14 Depth=2
	v_lshl_add_u32 v18, v15, 1, s29
	v_cmp_gt_i32_e64 s0, s19, v3
	v_mov_b32_e32 v17, 0
	s_delay_alu instid0(VALU_DEP_3) | instskip(SKIP_1) | instid1(VALU_DEP_2)
	v_cmp_gt_i32_e64 s1, s18, v18
	v_cmp_lt_i32_e64 s2, -1, v18
	s_and_b32 s0, s0, s1
	s_delay_alu instid0(VALU_DEP_1) | instid1(SALU_CYCLE_1)
	s_and_b32 s0, s0, s2
	s_delay_alu instid0(SALU_CYCLE_1)
	s_and_saveexec_b32 s1, s0
	s_cbranch_execz .LBB42_17
; %bb.16:                               ;   in Loop: Header=BB42_14 Depth=2
	v_mad_u64_u32 v[19:20], null, v18, s19, v[3:4]
	v_mov_b32_e32 v20, v8
	s_delay_alu instid0(VALU_DEP_1) | instskip(NEXT) | instid1(VALU_DEP_1)
	v_lshlrev_b64 v[17:18], 1, v[19:20]
	v_add_co_u32 v17, s0, v12, v17
	s_delay_alu instid0(VALU_DEP_1)
	v_add_co_ci_u32_e64 v18, s0, v13, v18, s0
	global_load_u16 v3, v[17:18], off
	s_waitcnt vmcnt(0)
	v_lshlrev_b32_e32 v17, 16, v3
.LBB42_17:                              ;   in Loop: Header=BB42_14 Depth=2
	s_or_b32 exec_lo, exec_lo, s1
.LBB42_18:                              ;   in Loop: Header=BB42_14 Depth=2
	s_delay_alu instid0(SALU_CYCLE_1) | instskip(SKIP_2) | instid1(VALU_DEP_1)
	s_or_b32 exec_lo, exec_lo, s40
	v_add_nc_u32_e32 v14, 32, v14
	s_mov_b32 s1, exec_lo
	v_cmpx_le_i32_e64 s23, v14
	s_cbranch_execz .LBB42_13
; %bb.19:                               ;   in Loop: Header=BB42_14 Depth=2
	s_mov_b32 s2, 0
.LBB42_20:                              ;   Parent Loop BB42_6 Depth=1
                                        ;     Parent Loop BB42_14 Depth=2
                                        ; =>    This Inner Loop Header: Depth=3
	v_subrev_nc_u32_e32 v14, s23, v14
	v_add_nc_u32_e32 v15, 1, v15
	s_delay_alu instid0(VALU_DEP_2) | instskip(NEXT) | instid1(VALU_DEP_1)
	v_cmp_gt_i32_e64 s0, s23, v14
	s_or_b32 s2, s0, s2
	s_delay_alu instid0(SALU_CYCLE_1)
	s_and_not1_b32 exec_lo, exec_lo, s2
	s_cbranch_execnz .LBB42_20
; %bb.21:                               ;   in Loop: Header=BB42_14 Depth=2
	s_or_b32 exec_lo, exec_lo, s2
	s_branch .LBB42_13
.LBB42_22:
	s_or_b32 exec_lo, exec_lo, s28
.LBB42_23:
	s_delay_alu instid0(SALU_CYCLE_1)
	s_or_b32 exec_lo, exec_lo, s36
	v_bfe_u32 v1, v5, 16, 1
	v_cmp_o_f32_e32 vcc_lo, v5, v5
	s_bcnt1_i32_b32 s1, s16
	s_mov_b32 s0, -1
	s_cmp_lg_u32 s1, 1
	v_add3_u32 v1, v5, v1, 0x7fff
	s_delay_alu instid0(VALU_DEP_1) | instskip(SKIP_1) | instid1(VALU_DEP_2)
	v_lshrrev_b32_e32 v2, 16, v1
	v_lshl_add_u32 v1, v0, 1, 0
	v_cndmask_b32_e32 v2, 0x7fc0, v2, vcc_lo
	ds_store_b16 v1, v2
	s_waitcnt lgkmcnt(0)
	s_barrier
	buffer_gl0_inv
	s_cbranch_scc1 .LBB42_32
; %bb.24:
	s_and_not1_b32 vcc_lo, exec_lo, s0
	s_cbranch_vccnz .LBB42_28
.LBB42_25:
	s_cmp_lt_u32 s16, 2
	s_cbranch_scc0 .LBB42_30
.LBB42_26:
	s_mov_b32 s0, exec_lo
	v_cmpx_eq_u32_e32 0, v0
	s_cbranch_execz .LBB42_28
; %bb.27:
	s_mul_i32 s0, s7, s33
	v_mov_b32_e32 v0, 0
	s_ashr_i32 s1, s0, 31
	s_mul_i32 s6, s8, s6
	s_lshl_b64 s[0:1], s[0:1], 1
	s_mul_i32 s4, s9, s5
	ds_load_u16 v1, v0
	s_add_u32 s2, s34, s0
	s_addc_u32 s8, s35, s1
	s_ashr_i32 s7, s6, 31
	s_delay_alu instid0(SALU_CYCLE_1) | instskip(NEXT) | instid1(SALU_CYCLE_1)
	s_lshl_b64 s[0:1], s[6:7], 1
	s_add_u32 s2, s2, s0
	s_addc_u32 s6, s8, s1
	s_ashr_i32 s5, s4, 31
	s_delay_alu instid0(SALU_CYCLE_1) | instskip(NEXT) | instid1(SALU_CYCLE_1)
	s_lshl_b64 s[0:1], s[4:5], 1
	s_add_u32 s2, s2, s0
	s_mul_i32 s0, s10, s3
	s_addc_u32 s3, s6, s1
	s_ashr_i32 s1, s0, 31
	s_delay_alu instid0(SALU_CYCLE_1) | instskip(NEXT) | instid1(SALU_CYCLE_1)
	s_lshl_b64 s[0:1], s[0:1], 1
	s_add_u32 s0, s2, s0
	s_addc_u32 s1, s3, s1
	s_waitcnt lgkmcnt(0)
	global_store_b16 v0, v1, s[0:1]
.LBB42_28:
	s_nop 0
	s_sendmsg sendmsg(MSG_DEALLOC_VGPRS)
	s_endpgm
	.p2align	6
.LBB42_29:                              ;   in Loop: Header=BB42_30 Depth=1
	s_or_b32 exec_lo, exec_lo, s1
	s_cmp_lt_u32 s16, 4
	s_mov_b32 s16, s0
	s_waitcnt lgkmcnt(0)
	s_barrier
	buffer_gl0_inv
	s_cbranch_scc1 .LBB42_26
.LBB42_30:                              ; =>This Inner Loop Header: Depth=1
	s_lshr_b32 s0, s16, 1
	s_mov_b32 s1, exec_lo
	v_cmpx_gt_u32_e64 s0, v0
	s_cbranch_execz .LBB42_29
; %bb.31:                               ;   in Loop: Header=BB42_30 Depth=1
	v_lshl_add_u32 v2, s0, 1, v1
	ds_load_u16 v2, v2
	ds_load_u16 v3, v1
	s_waitcnt lgkmcnt(1)
	v_lshlrev_b32_e32 v2, 16, v2
	s_waitcnt lgkmcnt(0)
	v_lshlrev_b32_e32 v3, 16, v3
	s_delay_alu instid0(VALU_DEP_1) | instskip(NEXT) | instid1(VALU_DEP_1)
	v_add_f32_e32 v2, v2, v3
	v_bfe_u32 v3, v2, 16, 1
	v_cmp_o_f32_e32 vcc_lo, v2, v2
	s_delay_alu instid0(VALU_DEP_2) | instskip(NEXT) | instid1(VALU_DEP_1)
	v_add3_u32 v3, v2, v3, 0x7fff
	v_lshrrev_b32_e32 v3, 16, v3
	s_delay_alu instid0(VALU_DEP_1)
	v_cndmask_b32_e32 v2, 0x7fc0, v3, vcc_lo
	ds_store_b16 v1, v2
	s_branch .LBB42_29
.LBB42_32:
	s_cbranch_execnz .LBB42_34
; %bb.33:
	; divergent unreachable
	s_cbranch_execz .LBB42_25
	s_branch .LBB42_28
.LBB42_34:
	s_trap 2
	s_sendmsg_rtn_b32 s0, sendmsg(MSG_RTN_GET_DOORBELL)
	s_mov_b32 ttmp2, m0
	s_waitcnt lgkmcnt(0)
	s_and_b32 s0, s0, 0x3ff
	s_delay_alu instid0(SALU_CYCLE_1) | instskip(NEXT) | instid1(SALU_CYCLE_1)
	s_bitset1_b32 s0, 10
	s_mov_b32 m0, s0
	s_sendmsg sendmsg(MSG_INTERRUPT)
	s_mov_b32 m0, ttmp2
.LBB42_35:                              ; =>This Inner Loop Header: Depth=1
	s_sethalt 5
	s_branch .LBB42_35
	.section	.rodata,"a",@progbits
	.p2align	6, 0x0
	.amdhsa_kernel _ZN2at6native12_GLOBAL__N_144conv_depthwise3d_cuda_backward_weight_kernelIN3c108BFloat16EfLi2ELi2EEEvN5torch10headeronly6detail27GenericPackedTensorAccessorINS7_14TensorAccessorINS3_8ArrayRefIlEEKT_Lm4ENS6_16DefaultPtrTraitsEiEENS_6detail16IndexBoundsCheckILm5EiEESD_Lm5ESE_iEESJ_NS8_INS9_ISB_SC_Lm4ESE_iEESI_SC_Lm5ESE_iEEiiiiiiiii
		.amdhsa_group_segment_fixed_size 0
		.amdhsa_private_segment_fixed_size 0
		.amdhsa_kernarg_size 440
		.amdhsa_user_sgpr_count 15
		.amdhsa_user_sgpr_dispatch_ptr 0
		.amdhsa_user_sgpr_queue_ptr 0
		.amdhsa_user_sgpr_kernarg_segment_ptr 1
		.amdhsa_user_sgpr_dispatch_id 0
		.amdhsa_user_sgpr_private_segment_size 0
		.amdhsa_wavefront_size32 1
		.amdhsa_uses_dynamic_stack 0
		.amdhsa_enable_private_segment 0
		.amdhsa_system_sgpr_workgroup_id_x 1
		.amdhsa_system_sgpr_workgroup_id_y 0
		.amdhsa_system_sgpr_workgroup_id_z 0
		.amdhsa_system_sgpr_workgroup_info 0
		.amdhsa_system_vgpr_workitem_id 0
		.amdhsa_next_free_vgpr 21
		.amdhsa_next_free_sgpr 47
		.amdhsa_reserve_vcc 1
		.amdhsa_float_round_mode_32 0
		.amdhsa_float_round_mode_16_64 0
		.amdhsa_float_denorm_mode_32 3
		.amdhsa_float_denorm_mode_16_64 3
		.amdhsa_dx10_clamp 1
		.amdhsa_ieee_mode 1
		.amdhsa_fp16_overflow 0
		.amdhsa_workgroup_processor_mode 1
		.amdhsa_memory_ordered 1
		.amdhsa_forward_progress 0
		.amdhsa_shared_vgpr_count 0
		.amdhsa_exception_fp_ieee_invalid_op 0
		.amdhsa_exception_fp_denorm_src 0
		.amdhsa_exception_fp_ieee_div_zero 0
		.amdhsa_exception_fp_ieee_overflow 0
		.amdhsa_exception_fp_ieee_underflow 0
		.amdhsa_exception_fp_ieee_inexact 0
		.amdhsa_exception_int_div_zero 0
	.end_amdhsa_kernel
	.section	.text._ZN2at6native12_GLOBAL__N_144conv_depthwise3d_cuda_backward_weight_kernelIN3c108BFloat16EfLi2ELi2EEEvN5torch10headeronly6detail27GenericPackedTensorAccessorINS7_14TensorAccessorINS3_8ArrayRefIlEEKT_Lm4ENS6_16DefaultPtrTraitsEiEENS_6detail16IndexBoundsCheckILm5EiEESD_Lm5ESE_iEESJ_NS8_INS9_ISB_SC_Lm4ESE_iEESI_SC_Lm5ESE_iEEiiiiiiiii,"axG",@progbits,_ZN2at6native12_GLOBAL__N_144conv_depthwise3d_cuda_backward_weight_kernelIN3c108BFloat16EfLi2ELi2EEEvN5torch10headeronly6detail27GenericPackedTensorAccessorINS7_14TensorAccessorINS3_8ArrayRefIlEEKT_Lm4ENS6_16DefaultPtrTraitsEiEENS_6detail16IndexBoundsCheckILm5EiEESD_Lm5ESE_iEESJ_NS8_INS9_ISB_SC_Lm4ESE_iEESI_SC_Lm5ESE_iEEiiiiiiiii,comdat
.Lfunc_end42:
	.size	_ZN2at6native12_GLOBAL__N_144conv_depthwise3d_cuda_backward_weight_kernelIN3c108BFloat16EfLi2ELi2EEEvN5torch10headeronly6detail27GenericPackedTensorAccessorINS7_14TensorAccessorINS3_8ArrayRefIlEEKT_Lm4ENS6_16DefaultPtrTraitsEiEENS_6detail16IndexBoundsCheckILm5EiEESD_Lm5ESE_iEESJ_NS8_INS9_ISB_SC_Lm4ESE_iEESI_SC_Lm5ESE_iEEiiiiiiiii, .Lfunc_end42-_ZN2at6native12_GLOBAL__N_144conv_depthwise3d_cuda_backward_weight_kernelIN3c108BFloat16EfLi2ELi2EEEvN5torch10headeronly6detail27GenericPackedTensorAccessorINS7_14TensorAccessorINS3_8ArrayRefIlEEKT_Lm4ENS6_16DefaultPtrTraitsEiEENS_6detail16IndexBoundsCheckILm5EiEESD_Lm5ESE_iEESJ_NS8_INS9_ISB_SC_Lm4ESE_iEESI_SC_Lm5ESE_iEEiiiiiiiii
                                        ; -- End function
	.section	.AMDGPU.csdata,"",@progbits
; Kernel info:
; codeLenInByte = 2372
; NumSgprs: 49
; NumVgprs: 21
; ScratchSize: 0
; MemoryBound: 0
; FloatMode: 240
; IeeeMode: 1
; LDSByteSize: 0 bytes/workgroup (compile time only)
; SGPRBlocks: 6
; VGPRBlocks: 2
; NumSGPRsForWavesPerEU: 49
; NumVGPRsForWavesPerEU: 21
; Occupancy: 16
; WaveLimiterHint : 1
; COMPUTE_PGM_RSRC2:SCRATCH_EN: 0
; COMPUTE_PGM_RSRC2:USER_SGPR: 15
; COMPUTE_PGM_RSRC2:TRAP_HANDLER: 0
; COMPUTE_PGM_RSRC2:TGID_X_EN: 1
; COMPUTE_PGM_RSRC2:TGID_Y_EN: 0
; COMPUTE_PGM_RSRC2:TGID_Z_EN: 0
; COMPUTE_PGM_RSRC2:TIDIG_COMP_CNT: 0
	.section	.text._ZN2at6native12_GLOBAL__N_144conv_depthwise3d_cuda_backward_weight_kernelIN3c108BFloat16EfLin1ELin1EEEvN5torch10headeronly6detail27GenericPackedTensorAccessorINS7_14TensorAccessorINS3_8ArrayRefIlEEKT_Lm4ENS6_16DefaultPtrTraitsEiEENS_6detail16IndexBoundsCheckILm5EiEESD_Lm5ESE_iEESJ_NS8_INS9_ISB_SC_Lm4ESE_iEESI_SC_Lm5ESE_iEEiiiiiiiii,"axG",@progbits,_ZN2at6native12_GLOBAL__N_144conv_depthwise3d_cuda_backward_weight_kernelIN3c108BFloat16EfLin1ELin1EEEvN5torch10headeronly6detail27GenericPackedTensorAccessorINS7_14TensorAccessorINS3_8ArrayRefIlEEKT_Lm4ENS6_16DefaultPtrTraitsEiEENS_6detail16IndexBoundsCheckILm5EiEESD_Lm5ESE_iEESJ_NS8_INS9_ISB_SC_Lm4ESE_iEESI_SC_Lm5ESE_iEEiiiiiiiii,comdat
	.globl	_ZN2at6native12_GLOBAL__N_144conv_depthwise3d_cuda_backward_weight_kernelIN3c108BFloat16EfLin1ELin1EEEvN5torch10headeronly6detail27GenericPackedTensorAccessorINS7_14TensorAccessorINS3_8ArrayRefIlEEKT_Lm4ENS6_16DefaultPtrTraitsEiEENS_6detail16IndexBoundsCheckILm5EiEESD_Lm5ESE_iEESJ_NS8_INS9_ISB_SC_Lm4ESE_iEESI_SC_Lm5ESE_iEEiiiiiiiii ; -- Begin function _ZN2at6native12_GLOBAL__N_144conv_depthwise3d_cuda_backward_weight_kernelIN3c108BFloat16EfLin1ELin1EEEvN5torch10headeronly6detail27GenericPackedTensorAccessorINS7_14TensorAccessorINS3_8ArrayRefIlEEKT_Lm4ENS6_16DefaultPtrTraitsEiEENS_6detail16IndexBoundsCheckILm5EiEESD_Lm5ESE_iEESJ_NS8_INS9_ISB_SC_Lm4ESE_iEESI_SC_Lm5ESE_iEEiiiiiiiii
	.p2align	8
	.type	_ZN2at6native12_GLOBAL__N_144conv_depthwise3d_cuda_backward_weight_kernelIN3c108BFloat16EfLin1ELin1EEEvN5torch10headeronly6detail27GenericPackedTensorAccessorINS7_14TensorAccessorINS3_8ArrayRefIlEEKT_Lm4ENS6_16DefaultPtrTraitsEiEENS_6detail16IndexBoundsCheckILm5EiEESD_Lm5ESE_iEESJ_NS8_INS9_ISB_SC_Lm4ESE_iEESI_SC_Lm5ESE_iEEiiiiiiiii,@function
_ZN2at6native12_GLOBAL__N_144conv_depthwise3d_cuda_backward_weight_kernelIN3c108BFloat16EfLin1ELin1EEEvN5torch10headeronly6detail27GenericPackedTensorAccessorINS7_14TensorAccessorINS3_8ArrayRefIlEEKT_Lm4ENS6_16DefaultPtrTraitsEiEENS_6detail16IndexBoundsCheckILm5EiEESD_Lm5ESE_iEESJ_NS8_INS9_ISB_SC_Lm4ESE_iEESI_SC_Lm5ESE_iEEiiiiiiiii: ; @_ZN2at6native12_GLOBAL__N_144conv_depthwise3d_cuda_backward_weight_kernelIN3c108BFloat16EfLin1ELin1EEEvN5torch10headeronly6detail27GenericPackedTensorAccessorINS7_14TensorAccessorINS3_8ArrayRefIlEEKT_Lm4ENS6_16DefaultPtrTraitsEiEENS_6detail16IndexBoundsCheckILm5EiEESD_Lm5ESE_iEESJ_NS8_INS9_ISB_SC_Lm4ESE_iEESI_SC_Lm5ESE_iEEiiiiiiiii
; %bb.0:
	s_load_b128 s[16:19], s[0:1], 0x70
	s_add_u32 s2, s0, 0x60
	s_addc_u32 s3, s1, 0
	s_clause 0x1
	s_load_b128 s[20:23], s[0:1], 0x3c
	s_load_b128 s[24:27], s[0:1], 0xc
	s_waitcnt lgkmcnt(0)
	v_cvt_f32_u32_e32 v1, s18
	v_cvt_f32_u32_e32 v2, s17
	s_sub_i32 s5, 0, s18
	s_delay_alu instid0(VALU_DEP_2) | instskip(NEXT) | instid1(VALU_DEP_1)
	v_rcp_iflag_f32_e32 v1, v1
	v_rcp_iflag_f32_e32 v2, v2
	s_waitcnt_depctr 0xfff
	v_dual_mul_f32 v1, 0x4f7ffffe, v1 :: v_dual_mul_f32 v2, 0x4f7ffffe, v2
	s_delay_alu instid0(VALU_DEP_1) | instskip(NEXT) | instid1(VALU_DEP_2)
	v_cvt_u32_f32_e32 v1, v1
	v_cvt_u32_f32_e32 v2, v2
	s_delay_alu instid0(VALU_DEP_2) | instskip(SKIP_1) | instid1(VALU_DEP_3)
	v_readfirstlane_b32 s4, v1
	v_cvt_f32_u32_e32 v1, s16
	v_readfirstlane_b32 s8, v2
	s_delay_alu instid0(VALU_DEP_3) | instskip(NEXT) | instid1(VALU_DEP_2)
	s_mul_i32 s5, s5, s4
	v_rcp_iflag_f32_e32 v1, v1
	s_mul_hi_u32 s5, s4, s5
	s_delay_alu instid0(SALU_CYCLE_1) | instskip(NEXT) | instid1(SALU_CYCLE_1)
	s_add_i32 s4, s4, s5
	s_mul_hi_u32 s4, s15, s4
	s_delay_alu instid0(SALU_CYCLE_1)
	s_mul_i32 s5, s4, s18
	s_add_i32 s6, s4, 1
	s_sub_i32 s5, s15, s5
	s_waitcnt_depctr 0xfff
	v_mul_f32_e32 v1, 0x4f7ffffe, v1
	s_sub_i32 s7, s5, s18
	s_cmp_ge_u32 s5, s18
	s_cselect_b32 s4, s6, s4
	s_cselect_b32 s5, s7, s5
	s_add_i32 s6, s4, 1
	s_cmp_ge_u32 s5, s18
	v_cvt_u32_f32_e32 v1, v1
	s_cselect_b32 s12, s6, s4
	s_sub_i32 s4, 0, s17
	s_delay_alu instid0(SALU_CYCLE_1) | instskip(NEXT) | instid1(SALU_CYCLE_1)
	s_mul_i32 s4, s4, s8
	s_mul_hi_u32 s4, s8, s4
	s_delay_alu instid0(SALU_CYCLE_1) | instskip(NEXT) | instid1(SALU_CYCLE_1)
	s_add_i32 s8, s8, s4
	s_mul_hi_u32 s4, s12, s8
	v_readfirstlane_b32 s8, v1
	s_mul_i32 s5, s4, s17
	s_add_i32 s6, s4, 1
	s_sub_i32 s5, s12, s5
	s_delay_alu instid0(SALU_CYCLE_1)
	s_sub_i32 s7, s5, s17
	s_cmp_ge_u32 s5, s17
	s_cselect_b32 s4, s6, s4
	s_cselect_b32 s5, s7, s5
	s_add_i32 s6, s4, 1
	s_cmp_ge_u32 s5, s17
	s_cselect_b32 s13, s6, s4
	s_sub_i32 s4, 0, s16
	s_delay_alu instid0(SALU_CYCLE_1) | instskip(NEXT) | instid1(SALU_CYCLE_1)
	s_mul_i32 s4, s4, s8
	s_mul_hi_u32 s4, s8, s4
	s_delay_alu instid0(SALU_CYCLE_1) | instskip(NEXT) | instid1(SALU_CYCLE_1)
	s_add_i32 s8, s8, s4
	s_mul_hi_u32 s4, s13, s8
	s_delay_alu instid0(SALU_CYCLE_1) | instskip(SKIP_2) | instid1(SALU_CYCLE_1)
	s_mul_i32 s5, s4, s16
	s_add_i32 s6, s4, 1
	s_sub_i32 s5, s13, s5
	s_sub_i32 s7, s5, s16
	s_cmp_ge_u32 s5, s16
	s_cselect_b32 s4, s6, s4
	s_cselect_b32 s5, s7, s5
	s_add_i32 s6, s4, 1
	s_cmp_ge_u32 s5, s16
	s_cselect_b32 s33, s6, s4
	s_abs_i32 s4, s20
	s_abs_i32 s7, s24
	v_cvt_f32_u32_e32 v1, s4
	s_sub_i32 s6, 0, s4
	s_delay_alu instid0(VALU_DEP_1) | instskip(SKIP_2) | instid1(VALU_DEP_1)
	v_rcp_iflag_f32_e32 v1, v1
	s_waitcnt_depctr 0xfff
	v_mul_f32_e32 v1, 0x4f7ffffe, v1
	v_cvt_u32_f32_e32 v1, v1
	s_delay_alu instid0(VALU_DEP_1) | instskip(NEXT) | instid1(VALU_DEP_1)
	v_readfirstlane_b32 s5, v1
	s_mul_i32 s6, s6, s5
	s_delay_alu instid0(SALU_CYCLE_1) | instskip(NEXT) | instid1(SALU_CYCLE_1)
	s_mul_hi_u32 s6, s5, s6
	s_add_i32 s5, s5, s6
	s_xor_b32 s6, s24, s20
	s_mul_hi_u32 s5, s7, s5
	s_ashr_i32 s6, s6, 31
	s_mul_i32 s8, s5, s4
	s_delay_alu instid0(SALU_CYCLE_1)
	s_sub_i32 s7, s7, s8
	s_add_i32 s8, s5, 1
	s_sub_i32 s9, s7, s4
	s_cmp_ge_u32 s7, s4
	s_cselect_b32 s5, s8, s5
	s_cselect_b32 s7, s9, s7
	s_add_i32 s8, s5, 1
	s_cmp_ge_u32 s7, s4
	s_cselect_b32 s4, s8, s5
	s_delay_alu instid0(SALU_CYCLE_1) | instskip(NEXT) | instid1(SALU_CYCLE_1)
	s_xor_b32 s4, s4, s6
	s_sub_i32 s14, s4, s6
	s_load_b32 s4, s[0:1], 0x68
	s_abs_i32 s43, s14
	s_delay_alu instid0(SALU_CYCLE_1) | instskip(NEXT) | instid1(VALU_DEP_1)
	v_cvt_f32_u32_e32 v1, s43
	v_rcp_iflag_f32_e32 v1, v1
	s_waitcnt_depctr 0xfff
	v_mul_f32_e32 v1, 0x4f7ffffe, v1
	s_waitcnt lgkmcnt(0)
	s_cmp_ge_i32 s33, s4
	s_delay_alu instid0(VALU_DEP_1) | instskip(NEXT) | instid1(VALU_DEP_1)
	v_cvt_u32_f32_e32 v1, v1
	v_readfirstlane_b32 s28, v1
	s_cbranch_scc1 .LBB43_28
; %bb.1:
	s_clause 0x1
	s_load_b32 s40, s[0:1], 0x38
	s_load_b128 s[36:39], s[2:3], 0x44
	s_load_b32 s24, s[0:1], 0xc4
	s_clause 0x1
	s_load_b64 s[34:35], s[2:3], 0x0
	s_load_b256 s[4:11], s[2:3], 0x24
	v_lshrrev_b32_e32 v6, 5, v0
	v_mov_b32_e32 v7, 0
	s_mul_i32 s2, s12, s18
	s_mul_i32 s17, s13, s17
	;; [unrolled: 1-line block ×3, first 2 shown]
	s_sub_i32 s3, s15, s2
	s_sub_i32 s17, s12, s17
	;; [unrolled: 1-line block ×3, first 2 shown]
	s_mov_b32 s41, exec_lo
	s_waitcnt lgkmcnt(0)
	s_mul_i32 s40, s40, s25
	s_and_b32 s24, s24, 0xffff
	v_cmpx_gt_i32_e64 s40, v6
	s_cbranch_execz .LBB43_23
; %bb.2:
	s_sub_i32 s2, 0, s43
	s_ashr_i32 s18, s14, 31
	s_mul_i32 s2, s2, s28
	s_abs_i32 s29, s33
	s_mul_hi_u32 s2, s28, s2
	s_clause 0x1
	s_load_b64 s[44:45], s[0:1], 0x0
	s_load_b128 s[12:15], s[0:1], 0x1c
	s_add_i32 s28, s28, s2
	s_ashr_i32 s16, s33, 31
	s_mul_hi_u32 s2, s29, s28
	s_lshr_b32 s42, s24, 5
	s_waitcnt lgkmcnt(0)
	s_mul_i32 s15, s2, s43
	s_xor_b32 s16, s16, s18
	s_sub_i32 s15, s29, s15
	s_load_b128 s[28:31], s[0:1], 0x4c
	s_add_i32 s18, s2, 1
	s_sub_i32 s46, s15, s43
	s_cmp_ge_u32 s15, s43
	s_load_b64 s[0:1], s[0:1], 0x30
	s_cselect_b32 s2, s18, s2
	s_cselect_b32 s15, s46, s15
	s_add_i32 s18, s2, 1
	s_cmp_ge_u32 s15, s43
	v_mov_b32_e32 v10, 0
	s_cselect_b32 s2, s18, s2
	s_ashr_i32 s18, s25, 31
	s_mul_i32 s46, s13, s33
	s_xor_b32 s2, s2, s16
	s_ashr_i32 s47, s46, 31
	s_sub_i32 s2, s2, s16
	s_abs_i32 s16, s25
	s_mul_i32 s13, s20, s37
	s_lshl_b64 s[46:47], s[46:47], 1
	s_sub_i32 s43, 0, s16
	s_sub_i32 s10, s13, s10
	s_add_u32 s13, s44, s46
	s_waitcnt lgkmcnt(0)
	s_mul_i32 s44, s29, s2
	s_addc_u32 s15, s45, s47
	s_ashr_i32 s45, s44, 31
	v_cvt_f32_u32_e32 v1, s16
	s_lshl_b64 s[44:45], s[44:45], 1
	s_mov_b32 s37, 0
	s_add_u32 s29, s0, s44
	s_addc_u32 s31, s1, s45
	s_abs_i32 s1, s27
	v_rcp_iflag_f32_e32 v1, v1
	v_cvt_f32_u32_e32 v2, s1
	s_sub_i32 s0, 0, s1
	s_delay_alu instid0(VALU_DEP_1) | instskip(SKIP_2) | instid1(VALU_DEP_1)
	v_rcp_iflag_f32_e32 v2, v2
	s_waitcnt_depctr 0xfff
	v_dual_mul_f32 v1, 0x4f7ffffe, v1 :: v_dual_mul_f32 v2, 0x4f7ffffe, v2
	v_cvt_u32_f32_e32 v1, v1
	s_delay_alu instid0(VALU_DEP_2) | instskip(NEXT) | instid1(VALU_DEP_2)
	v_cvt_u32_f32_e32 v2, v2
	v_mul_lo_u32 v3, s43, v1
	s_delay_alu instid0(VALU_DEP_2) | instskip(NEXT) | instid1(VALU_DEP_2)
	v_mul_lo_u32 v4, s0, v2
	v_mul_hi_u32 v3, v1, v3
	s_delay_alu instid0(VALU_DEP_2) | instskip(NEXT) | instid1(VALU_DEP_2)
	v_mul_hi_u32 v4, v2, v4
	v_add_nc_u32_e32 v1, v1, v3
	s_delay_alu instid0(VALU_DEP_1) | instskip(NEXT) | instid1(VALU_DEP_1)
	v_mul_hi_u32 v1, v6, v1
	v_add_nc_u32_e32 v7, 1, v1
	s_delay_alu instid0(VALU_DEP_4) | instskip(SKIP_1) | instid1(VALU_DEP_1)
	v_add_nc_u32_e32 v2, v2, v4
	v_mul_lo_u32 v4, v1, s16
	v_sub_nc_u32_e32 v4, v6, v4
	s_delay_alu instid0(VALU_DEP_1) | instskip(SKIP_2) | instid1(VALU_DEP_1)
	v_cmp_le_u32_e32 vcc_lo, s16, v4
	v_cndmask_b32_e32 v1, v1, v7, vcc_lo
	v_subrev_nc_u32_e32 v7, s16, v4
	v_dual_cndmask_b32 v4, v4, v7 :: v_dual_and_b32 v3, 31, v0
	s_delay_alu instid0(VALU_DEP_1) | instskip(NEXT) | instid1(VALU_DEP_4)
	v_mul_hi_u32 v2, v3, v2
	v_add_nc_u32_e32 v7, 1, v1
	v_lshlrev_b32_e32 v11, 1, v3
	s_delay_alu instid0(VALU_DEP_4) | instskip(NEXT) | instid1(VALU_DEP_4)
	v_cmp_le_u32_e32 vcc_lo, s16, v4
	v_mul_lo_u32 v5, v2, s1
	s_delay_alu instid0(VALU_DEP_4) | instskip(SKIP_1) | instid1(VALU_DEP_2)
	v_dual_cndmask_b32 v1, v1, v7 :: v_dual_add_nc_u32 v8, 1, v2
	v_mov_b32_e32 v7, 0
	v_xor_b32_e32 v1, s18, v1
	s_delay_alu instid0(VALU_DEP_4) | instskip(NEXT) | instid1(VALU_DEP_1)
	v_sub_nc_u32_e32 v5, v3, v5
	v_subrev_nc_u32_e32 v9, s1, v5
	v_cmp_le_u32_e64 s0, s1, v5
	s_delay_alu instid0(VALU_DEP_1) | instskip(NEXT) | instid1(VALU_DEP_3)
	v_cndmask_b32_e64 v2, v2, v8, s0
	v_cndmask_b32_e64 v5, v5, v9, s0
	s_ashr_i32 s0, s27, 31
	s_delay_alu instid0(VALU_DEP_2) | instskip(NEXT) | instid1(VALU_DEP_2)
	v_add_nc_u32_e32 v8, 1, v2
	v_cmp_le_u32_e32 vcc_lo, s1, v5
	s_mul_i32 s1, s17, s38
	s_delay_alu instid0(VALU_DEP_2) | instskip(SKIP_2) | instid1(VALU_DEP_2)
	v_cndmask_b32_e32 v2, v2, v8, vcc_lo
	v_subrev_nc_u32_e32 v8, s18, v1
	s_sub_i32 s18, s1, s11
	v_xor_b32_e32 v2, s0, v2
	s_delay_alu instid0(VALU_DEP_2) | instskip(NEXT) | instid1(VALU_DEP_2)
	v_mul_lo_u32 v1, v8, s25
	v_subrev_nc_u32_e32 v9, s0, v2
	s_mul_i32 s0, s3, s39
	s_delay_alu instid0(SALU_CYCLE_1) | instskip(NEXT) | instid1(VALU_DEP_2)
	s_sub_i32 s16, s0, s36
	v_sub_nc_u32_e32 v12, v6, v1
	s_delay_alu instid0(VALU_DEP_2) | instskip(SKIP_1) | instid1(VALU_DEP_2)
	v_mul_lo_u32 v2, v9, s27
	v_cmp_gt_i32_e32 vcc_lo, s26, v9
	v_sub_nc_u32_e32 v13, v3, v2
	s_branch .LBB43_6
.LBB43_3:                               ;   in Loop: Header=BB43_6 Depth=1
	s_or_b32 exec_lo, exec_lo, s38
.LBB43_4:                               ;   in Loop: Header=BB43_6 Depth=1
	s_delay_alu instid0(SALU_CYCLE_1)
	s_or_b32 exec_lo, exec_lo, s36
.LBB43_5:                               ;   in Loop: Header=BB43_6 Depth=1
	s_delay_alu instid0(SALU_CYCLE_1) | instskip(SKIP_2) | instid1(VALU_DEP_2)
	s_or_b32 exec_lo, exec_lo, s11
	v_add_nc_u32_e32 v6, s42, v6
	v_add_nc_u32_e32 v12, s42, v12
	v_cmp_le_i32_e64 s0, s40, v6
	s_delay_alu instid0(VALU_DEP_1) | instskip(NEXT) | instid1(SALU_CYCLE_1)
	s_or_b32 s37, s0, s37
	s_and_not1_b32 exec_lo, exec_lo, s37
	s_cbranch_execz .LBB43_22
.LBB43_6:                               ; =>This Loop Header: Depth=1
                                        ;     Child Loop BB43_8 Depth 2
                                        ;     Child Loop BB43_14 Depth 2
                                        ;       Child Loop BB43_20 Depth 3
	s_mov_b32 s1, exec_lo
	v_cmpx_le_i32_e64 s25, v12
	s_cbranch_execz .LBB43_10
; %bb.7:                                ;   in Loop: Header=BB43_6 Depth=1
	s_mov_b32 s2, 0
.LBB43_8:                               ;   Parent Loop BB43_6 Depth=1
                                        ; =>  This Inner Loop Header: Depth=2
	v_subrev_nc_u32_e32 v12, s25, v12
	v_add_nc_u32_e32 v8, 1, v8
	s_delay_alu instid0(VALU_DEP_2) | instskip(NEXT) | instid1(VALU_DEP_1)
	v_cmp_gt_i32_e64 s0, s25, v12
	s_or_b32 s2, s0, s2
	s_delay_alu instid0(SALU_CYCLE_1)
	s_and_not1_b32 exec_lo, exec_lo, s2
	s_cbranch_execnz .LBB43_8
; %bb.9:                                ;   in Loop: Header=BB43_6 Depth=1
	s_or_b32 exec_lo, exec_lo, s2
.LBB43_10:                              ;   in Loop: Header=BB43_6 Depth=1
	s_delay_alu instid0(SALU_CYCLE_1) | instskip(SKIP_1) | instid1(VALU_DEP_1)
	s_or_b32 exec_lo, exec_lo, s1
	v_mad_u64_u32 v[1:2], null, v12, s7, s[10:11]
	v_cmp_lt_i32_e64 s0, -1, v1
	v_cmp_gt_i32_e64 s1, s21, v1
	s_delay_alu instid0(VALU_DEP_1) | instskip(NEXT) | instid1(SALU_CYCLE_1)
	s_and_b32 s0, s0, s1
	s_and_saveexec_b32 s11, s0
	s_cbranch_execz .LBB43_5
; %bb.11:                               ;   in Loop: Header=BB43_6 Depth=1
	s_and_saveexec_b32 s36, vcc_lo
	s_cbranch_execz .LBB43_4
; %bb.12:                               ;   in Loop: Header=BB43_6 Depth=1
	v_mul_lo_u32 v2, s12, v8
	v_mul_lo_u32 v4, s28, v8
	;; [unrolled: 1-line block ×4, first 2 shown]
	s_mov_b32 s38, 0
	s_delay_alu instid0(VALU_DEP_4) | instskip(NEXT) | instid1(VALU_DEP_4)
	v_ashrrev_i32_e32 v3, 31, v2
	v_ashrrev_i32_e32 v5, 31, v4
	s_delay_alu instid0(VALU_DEP_4) | instskip(NEXT) | instid1(VALU_DEP_4)
	v_ashrrev_i32_e32 v17, 31, v16
	v_ashrrev_i32_e32 v15, 31, v14
	s_delay_alu instid0(VALU_DEP_4) | instskip(NEXT) | instid1(VALU_DEP_4)
	v_lshlrev_b64 v[1:2], 1, v[2:3]
	v_lshlrev_b64 v[3:4], 1, v[4:5]
	s_delay_alu instid0(VALU_DEP_4) | instskip(NEXT) | instid1(VALU_DEP_4)
	v_lshlrev_b64 v[16:17], 1, v[16:17]
	v_lshlrev_b64 v[14:15], 1, v[14:15]
	s_delay_alu instid0(VALU_DEP_4) | instskip(NEXT) | instid1(VALU_DEP_1)
	v_add_co_u32 v1, s0, s13, v1
	v_add_co_ci_u32_e64 v2, s0, s15, v2, s0
	v_add_co_u32 v3, s0, s29, v3
	s_delay_alu instid0(VALU_DEP_1) | instskip(NEXT) | instid1(VALU_DEP_4)
	v_add_co_ci_u32_e64 v4, s0, s31, v4, s0
	v_add_co_u32 v1, s0, v1, v16
	s_delay_alu instid0(VALU_DEP_1) | instskip(NEXT) | instid1(VALU_DEP_4)
	v_add_co_ci_u32_e64 v2, s0, v2, v17, s0
	v_add_co_u32 v14, s0, v3, v14
	s_delay_alu instid0(VALU_DEP_1) | instskip(NEXT) | instid1(VALU_DEP_4)
	v_add_co_ci_u32_e64 v15, s0, v4, v15, s0
	v_add_co_u32 v1, s0, v1, v11
	s_delay_alu instid0(VALU_DEP_1)
	v_add_co_ci_u32_e64 v2, s0, 0, v2, s0
	v_mov_b32_e32 v16, v13
	v_mov_b32_e32 v17, v9
	s_branch .LBB43_14
.LBB43_13:                              ;   in Loop: Header=BB43_14 Depth=2
	s_or_b32 exec_lo, exec_lo, s1
	s_waitcnt vmcnt(0)
	v_lshlrev_b32_e32 v3, 16, v18
	v_cmp_le_i32_e64 s0, s26, v17
	v_add_co_u32 v1, s1, v1, 64
	s_delay_alu instid0(VALU_DEP_1) | instskip(NEXT) | instid1(VALU_DEP_4)
	v_add_co_ci_u32_e64 v2, s1, 0, v2, s1
	v_fmac_f32_e32 v7, v5, v3
	s_delay_alu instid0(VALU_DEP_4) | instskip(NEXT) | instid1(SALU_CYCLE_1)
	s_or_b32 s38, s0, s38
	s_and_not1_b32 exec_lo, exec_lo, s38
	s_cbranch_execz .LBB43_3
.LBB43_14:                              ;   Parent Loop BB43_6 Depth=1
                                        ; =>  This Loop Header: Depth=2
                                        ;       Child Loop BB43_20 Depth 3
	global_load_u16 v18, v[1:2], off
	v_mad_u64_u32 v[3:4], null, v16, s9, s[16:17]
	v_mov_b32_e32 v5, 0
	s_mov_b32 s39, exec_lo
	s_delay_alu instid0(VALU_DEP_2)
	v_cmpx_lt_i32_e32 -1, v3
	s_cbranch_execz .LBB43_18
; %bb.15:                               ;   in Loop: Header=BB43_14 Depth=2
	v_mad_u64_u32 v[4:5], null, v17, s8, s[18:19]
	v_cmp_gt_i32_e64 s0, s23, v3
	v_mov_b32_e32 v5, 0
	s_delay_alu instid0(VALU_DEP_3) | instskip(SKIP_1) | instid1(VALU_DEP_2)
	v_cmp_gt_i32_e64 s1, s22, v4
	v_cmp_lt_i32_e64 s2, -1, v4
	s_and_b32 s0, s0, s1
	s_delay_alu instid0(VALU_DEP_1) | instid1(SALU_CYCLE_1)
	s_and_b32 s0, s0, s2
	s_delay_alu instid0(SALU_CYCLE_1)
	s_and_saveexec_b32 s1, s0
	s_cbranch_execz .LBB43_17
; %bb.16:                               ;   in Loop: Header=BB43_14 Depth=2
	v_mad_u64_u32 v[19:20], null, v4, s23, v[3:4]
	v_mov_b32_e32 v20, v10
	s_delay_alu instid0(VALU_DEP_1) | instskip(NEXT) | instid1(VALU_DEP_1)
	v_lshlrev_b64 v[3:4], 1, v[19:20]
	v_add_co_u32 v3, s0, v14, v3
	s_delay_alu instid0(VALU_DEP_1)
	v_add_co_ci_u32_e64 v4, s0, v15, v4, s0
	global_load_u16 v3, v[3:4], off
	s_waitcnt vmcnt(0)
	v_lshlrev_b32_e32 v5, 16, v3
.LBB43_17:                              ;   in Loop: Header=BB43_14 Depth=2
	s_or_b32 exec_lo, exec_lo, s1
.LBB43_18:                              ;   in Loop: Header=BB43_14 Depth=2
	s_delay_alu instid0(SALU_CYCLE_1) | instskip(SKIP_2) | instid1(VALU_DEP_1)
	s_or_b32 exec_lo, exec_lo, s39
	v_add_nc_u32_e32 v16, 32, v16
	s_mov_b32 s1, exec_lo
	v_cmpx_le_i32_e64 s27, v16
	s_cbranch_execz .LBB43_13
; %bb.19:                               ;   in Loop: Header=BB43_14 Depth=2
	s_mov_b32 s2, 0
.LBB43_20:                              ;   Parent Loop BB43_6 Depth=1
                                        ;     Parent Loop BB43_14 Depth=2
                                        ; =>    This Inner Loop Header: Depth=3
	v_subrev_nc_u32_e32 v16, s27, v16
	v_add_nc_u32_e32 v17, 1, v17
	s_delay_alu instid0(VALU_DEP_2) | instskip(NEXT) | instid1(VALU_DEP_1)
	v_cmp_gt_i32_e64 s0, s27, v16
	s_or_b32 s2, s0, s2
	s_delay_alu instid0(SALU_CYCLE_1)
	s_and_not1_b32 exec_lo, exec_lo, s2
	s_cbranch_execnz .LBB43_20
; %bb.21:                               ;   in Loop: Header=BB43_14 Depth=2
	s_or_b32 exec_lo, exec_lo, s2
	s_branch .LBB43_13
.LBB43_22:
	s_or_b32 exec_lo, exec_lo, s37
.LBB43_23:
	s_delay_alu instid0(SALU_CYCLE_1)
	s_or_b32 exec_lo, exec_lo, s41
	v_bfe_u32 v1, v7, 16, 1
	v_cmp_o_f32_e32 vcc_lo, v7, v7
	s_bcnt1_i32_b32 s1, s24
	s_mov_b32 s0, -1
	s_cmp_lg_u32 s1, 1
	v_add3_u32 v1, v7, v1, 0x7fff
	s_delay_alu instid0(VALU_DEP_1) | instskip(SKIP_1) | instid1(VALU_DEP_2)
	v_lshrrev_b32_e32 v2, 16, v1
	v_lshl_add_u32 v1, v0, 1, 0
	v_cndmask_b32_e32 v2, 0x7fc0, v2, vcc_lo
	ds_store_b16 v1, v2
	s_waitcnt lgkmcnt(0)
	s_barrier
	buffer_gl0_inv
	s_cbranch_scc1 .LBB43_32
; %bb.24:
	s_and_not1_b32 vcc_lo, exec_lo, s0
	s_cbranch_vccnz .LBB43_28
.LBB43_25:
	s_cmp_lt_u32 s24, 2
	s_cbranch_scc0 .LBB43_30
.LBB43_26:
	s_mov_b32 s0, exec_lo
	v_cmpx_eq_u32_e32 0, v0
	s_cbranch_execz .LBB43_28
; %bb.27:
	s_mul_i32 s0, s19, s33
	v_mov_b32_e32 v0, 0
	s_ashr_i32 s1, s0, 31
	s_mul_i32 s8, s4, s20
	s_lshl_b64 s[0:1], s[0:1], 1
	s_mul_i32 s4, s5, s17
	ds_load_u16 v1, v0
	s_add_u32 s2, s34, s0
	s_addc_u32 s7, s35, s1
	s_ashr_i32 s9, s8, 31
	s_delay_alu instid0(SALU_CYCLE_1) | instskip(NEXT) | instid1(SALU_CYCLE_1)
	s_lshl_b64 s[0:1], s[8:9], 1
	s_add_u32 s2, s2, s0
	s_addc_u32 s7, s7, s1
	s_ashr_i32 s5, s4, 31
	s_delay_alu instid0(SALU_CYCLE_1) | instskip(NEXT) | instid1(SALU_CYCLE_1)
	s_lshl_b64 s[0:1], s[4:5], 1
	s_add_u32 s2, s2, s0
	s_mul_i32 s0, s6, s3
	s_addc_u32 s3, s7, s1
	s_ashr_i32 s1, s0, 31
	s_delay_alu instid0(SALU_CYCLE_1) | instskip(NEXT) | instid1(SALU_CYCLE_1)
	s_lshl_b64 s[0:1], s[0:1], 1
	s_add_u32 s0, s2, s0
	s_addc_u32 s1, s3, s1
	s_waitcnt lgkmcnt(0)
	global_store_b16 v0, v1, s[0:1]
.LBB43_28:
	s_nop 0
	s_sendmsg sendmsg(MSG_DEALLOC_VGPRS)
	s_endpgm
	.p2align	6
.LBB43_29:                              ;   in Loop: Header=BB43_30 Depth=1
	s_or_b32 exec_lo, exec_lo, s1
	s_cmp_lt_u32 s24, 4
	s_mov_b32 s24, s0
	s_waitcnt lgkmcnt(0)
	s_barrier
	buffer_gl0_inv
	s_cbranch_scc1 .LBB43_26
.LBB43_30:                              ; =>This Inner Loop Header: Depth=1
	s_lshr_b32 s0, s24, 1
	s_mov_b32 s1, exec_lo
	v_cmpx_gt_u32_e64 s0, v0
	s_cbranch_execz .LBB43_29
; %bb.31:                               ;   in Loop: Header=BB43_30 Depth=1
	v_lshl_add_u32 v2, s0, 1, v1
	ds_load_u16 v2, v2
	ds_load_u16 v3, v1
	s_waitcnt lgkmcnt(1)
	v_lshlrev_b32_e32 v2, 16, v2
	s_waitcnt lgkmcnt(0)
	v_lshlrev_b32_e32 v3, 16, v3
	s_delay_alu instid0(VALU_DEP_1) | instskip(NEXT) | instid1(VALU_DEP_1)
	v_add_f32_e32 v2, v2, v3
	v_bfe_u32 v3, v2, 16, 1
	v_cmp_o_f32_e32 vcc_lo, v2, v2
	s_delay_alu instid0(VALU_DEP_2) | instskip(NEXT) | instid1(VALU_DEP_1)
	v_add3_u32 v3, v2, v3, 0x7fff
	v_lshrrev_b32_e32 v3, 16, v3
	s_delay_alu instid0(VALU_DEP_1)
	v_cndmask_b32_e32 v2, 0x7fc0, v3, vcc_lo
	ds_store_b16 v1, v2
	s_branch .LBB43_29
.LBB43_32:
	s_cbranch_execnz .LBB43_34
; %bb.33:
	; divergent unreachable
	s_cbranch_execz .LBB43_25
	s_branch .LBB43_28
.LBB43_34:
	s_trap 2
	s_sendmsg_rtn_b32 s0, sendmsg(MSG_RTN_GET_DOORBELL)
	s_mov_b32 ttmp2, m0
	s_waitcnt lgkmcnt(0)
	s_and_b32 s0, s0, 0x3ff
	s_delay_alu instid0(SALU_CYCLE_1) | instskip(NEXT) | instid1(SALU_CYCLE_1)
	s_bitset1_b32 s0, 10
	s_mov_b32 m0, s0
	s_sendmsg sendmsg(MSG_INTERRUPT)
	s_mov_b32 m0, ttmp2
.LBB43_35:                              ; =>This Inner Loop Header: Depth=1
	s_sethalt 5
	s_branch .LBB43_35
	.section	.rodata,"a",@progbits
	.p2align	6, 0x0
	.amdhsa_kernel _ZN2at6native12_GLOBAL__N_144conv_depthwise3d_cuda_backward_weight_kernelIN3c108BFloat16EfLin1ELin1EEEvN5torch10headeronly6detail27GenericPackedTensorAccessorINS7_14TensorAccessorINS3_8ArrayRefIlEEKT_Lm4ENS6_16DefaultPtrTraitsEiEENS_6detail16IndexBoundsCheckILm5EiEESD_Lm5ESE_iEESJ_NS8_INS9_ISB_SC_Lm4ESE_iEESI_SC_Lm5ESE_iEEiiiiiiiii
		.amdhsa_group_segment_fixed_size 0
		.amdhsa_private_segment_fixed_size 0
		.amdhsa_kernarg_size 440
		.amdhsa_user_sgpr_count 15
		.amdhsa_user_sgpr_dispatch_ptr 0
		.amdhsa_user_sgpr_queue_ptr 0
		.amdhsa_user_sgpr_kernarg_segment_ptr 1
		.amdhsa_user_sgpr_dispatch_id 0
		.amdhsa_user_sgpr_private_segment_size 0
		.amdhsa_wavefront_size32 1
		.amdhsa_uses_dynamic_stack 0
		.amdhsa_enable_private_segment 0
		.amdhsa_system_sgpr_workgroup_id_x 1
		.amdhsa_system_sgpr_workgroup_id_y 0
		.amdhsa_system_sgpr_workgroup_id_z 0
		.amdhsa_system_sgpr_workgroup_info 0
		.amdhsa_system_vgpr_workitem_id 0
		.amdhsa_next_free_vgpr 21
		.amdhsa_next_free_sgpr 48
		.amdhsa_reserve_vcc 1
		.amdhsa_float_round_mode_32 0
		.amdhsa_float_round_mode_16_64 0
		.amdhsa_float_denorm_mode_32 3
		.amdhsa_float_denorm_mode_16_64 3
		.amdhsa_dx10_clamp 1
		.amdhsa_ieee_mode 1
		.amdhsa_fp16_overflow 0
		.amdhsa_workgroup_processor_mode 1
		.amdhsa_memory_ordered 1
		.amdhsa_forward_progress 0
		.amdhsa_shared_vgpr_count 0
		.amdhsa_exception_fp_ieee_invalid_op 0
		.amdhsa_exception_fp_denorm_src 0
		.amdhsa_exception_fp_ieee_div_zero 0
		.amdhsa_exception_fp_ieee_overflow 0
		.amdhsa_exception_fp_ieee_underflow 0
		.amdhsa_exception_fp_ieee_inexact 0
		.amdhsa_exception_int_div_zero 0
	.end_amdhsa_kernel
	.section	.text._ZN2at6native12_GLOBAL__N_144conv_depthwise3d_cuda_backward_weight_kernelIN3c108BFloat16EfLin1ELin1EEEvN5torch10headeronly6detail27GenericPackedTensorAccessorINS7_14TensorAccessorINS3_8ArrayRefIlEEKT_Lm4ENS6_16DefaultPtrTraitsEiEENS_6detail16IndexBoundsCheckILm5EiEESD_Lm5ESE_iEESJ_NS8_INS9_ISB_SC_Lm4ESE_iEESI_SC_Lm5ESE_iEEiiiiiiiii,"axG",@progbits,_ZN2at6native12_GLOBAL__N_144conv_depthwise3d_cuda_backward_weight_kernelIN3c108BFloat16EfLin1ELin1EEEvN5torch10headeronly6detail27GenericPackedTensorAccessorINS7_14TensorAccessorINS3_8ArrayRefIlEEKT_Lm4ENS6_16DefaultPtrTraitsEiEENS_6detail16IndexBoundsCheckILm5EiEESD_Lm5ESE_iEESJ_NS8_INS9_ISB_SC_Lm4ESE_iEESI_SC_Lm5ESE_iEEiiiiiiiii,comdat
.Lfunc_end43:
	.size	_ZN2at6native12_GLOBAL__N_144conv_depthwise3d_cuda_backward_weight_kernelIN3c108BFloat16EfLin1ELin1EEEvN5torch10headeronly6detail27GenericPackedTensorAccessorINS7_14TensorAccessorINS3_8ArrayRefIlEEKT_Lm4ENS6_16DefaultPtrTraitsEiEENS_6detail16IndexBoundsCheckILm5EiEESD_Lm5ESE_iEESJ_NS8_INS9_ISB_SC_Lm4ESE_iEESI_SC_Lm5ESE_iEEiiiiiiiii, .Lfunc_end43-_ZN2at6native12_GLOBAL__N_144conv_depthwise3d_cuda_backward_weight_kernelIN3c108BFloat16EfLin1ELin1EEEvN5torch10headeronly6detail27GenericPackedTensorAccessorINS7_14TensorAccessorINS3_8ArrayRefIlEEKT_Lm4ENS6_16DefaultPtrTraitsEiEENS_6detail16IndexBoundsCheckILm5EiEESD_Lm5ESE_iEESJ_NS8_INS9_ISB_SC_Lm4ESE_iEESI_SC_Lm5ESE_iEEiiiiiiiii
                                        ; -- End function
	.section	.AMDGPU.csdata,"",@progbits
; Kernel info:
; codeLenInByte = 2360
; NumSgprs: 50
; NumVgprs: 21
; ScratchSize: 0
; MemoryBound: 0
; FloatMode: 240
; IeeeMode: 1
; LDSByteSize: 0 bytes/workgroup (compile time only)
; SGPRBlocks: 6
; VGPRBlocks: 2
; NumSGPRsForWavesPerEU: 50
; NumVGPRsForWavesPerEU: 21
; Occupancy: 16
; WaveLimiterHint : 1
; COMPUTE_PGM_RSRC2:SCRATCH_EN: 0
; COMPUTE_PGM_RSRC2:USER_SGPR: 15
; COMPUTE_PGM_RSRC2:TRAP_HANDLER: 0
; COMPUTE_PGM_RSRC2:TGID_X_EN: 1
; COMPUTE_PGM_RSRC2:TGID_Y_EN: 0
; COMPUTE_PGM_RSRC2:TGID_Z_EN: 0
; COMPUTE_PGM_RSRC2:TIDIG_COMP_CNT: 0
	.text
	.p2alignl 7, 3214868480
	.fill 96, 4, 3214868480
	.type	__hip_cuid_e0be696bf2e1dbab,@object ; @__hip_cuid_e0be696bf2e1dbab
	.section	.bss,"aw",@nobits
	.globl	__hip_cuid_e0be696bf2e1dbab
__hip_cuid_e0be696bf2e1dbab:
	.byte	0                               ; 0x0
	.size	__hip_cuid_e0be696bf2e1dbab, 1

	.ident	"AMD clang version 19.0.0git (https://github.com/RadeonOpenCompute/llvm-project roc-6.4.0 25133 c7fe45cf4b819c5991fe208aaa96edf142730f1d)"
	.section	".note.GNU-stack","",@progbits
	.addrsig
	.addrsig_sym __hip_cuid_e0be696bf2e1dbab
	.amdgpu_metadata
---
amdhsa.kernels:
  - .args:
      - .offset:         0
        .size:           48
        .value_kind:     by_value
      - .offset:         48
        .size:           48
        .value_kind:     by_value
      - .offset:         96
        .size:           48
        .value_kind:     by_value
      - .address_space:  global
        .offset:         144
        .size:           8
        .value_kind:     global_buffer
      - .offset:         152
        .size:           4
        .value_kind:     by_value
      - .offset:         156
        .size:           4
        .value_kind:     by_value
      - .offset:         160
        .size:           4
        .value_kind:     by_value
      - .offset:         164
        .size:           4
        .value_kind:     by_value
      - .offset:         168
        .size:           4
        .value_kind:     by_value
      - .offset:         172
        .size:           4
        .value_kind:     by_value
      - .offset:         176
        .size:           4
        .value_kind:     by_value
      - .offset:         180
        .size:           4
        .value_kind:     by_value
      - .offset:         184
        .size:           4
        .value_kind:     by_value
      - .offset:         192
        .size:           4
        .value_kind:     hidden_block_count_x
      - .offset:         196
        .size:           4
        .value_kind:     hidden_block_count_y
      - .offset:         200
        .size:           4
        .value_kind:     hidden_block_count_z
      - .offset:         204
        .size:           2
        .value_kind:     hidden_group_size_x
      - .offset:         206
        .size:           2
        .value_kind:     hidden_group_size_y
      - .offset:         208
        .size:           2
        .value_kind:     hidden_group_size_z
      - .offset:         210
        .size:           2
        .value_kind:     hidden_remainder_x
      - .offset:         212
        .size:           2
        .value_kind:     hidden_remainder_y
      - .offset:         214
        .size:           2
        .value_kind:     hidden_remainder_z
      - .offset:         232
        .size:           8
        .value_kind:     hidden_global_offset_x
      - .offset:         240
        .size:           8
        .value_kind:     hidden_global_offset_y
      - .offset:         248
        .size:           8
        .value_kind:     hidden_global_offset_z
      - .offset:         256
        .size:           2
        .value_kind:     hidden_grid_dims
    .group_segment_fixed_size: 0
    .kernarg_segment_align: 8
    .kernarg_segment_size: 448
    .language:       OpenCL C
    .language_version:
      - 2
      - 0
    .max_flat_workgroup_size: 1024
    .name:           _ZN2at6native12_GLOBAL__N_128conv_depthwise3d_cuda_kernelIddLi3ELi3ELi3ELi1ELi1ELi1EEEvN5torch10headeronly6detail27GenericPackedTensorAccessorINS5_14TensorAccessorIN3c108ArrayRefIlEEKT_Lm4ENS4_16DefaultPtrTraitsEiEENS_6detail16IndexBoundsCheckILm5EiEESC_Lm5ESD_iEENS6_INS7_ISA_SB_Lm4ESD_iEESH_SB_Lm5ESD_iEESI_PSC_iiiiiiiii
    .private_segment_fixed_size: 0
    .sgpr_count:     73
    .sgpr_spill_count: 0
    .symbol:         _ZN2at6native12_GLOBAL__N_128conv_depthwise3d_cuda_kernelIddLi3ELi3ELi3ELi1ELi1ELi1EEEvN5torch10headeronly6detail27GenericPackedTensorAccessorINS5_14TensorAccessorIN3c108ArrayRefIlEEKT_Lm4ENS4_16DefaultPtrTraitsEiEENS_6detail16IndexBoundsCheckILm5EiEESC_Lm5ESD_iEENS6_INS7_ISA_SB_Lm4ESD_iEESH_SB_Lm5ESD_iEESI_PSC_iiiiiiiii.kd
    .uniform_work_group_size: 1
    .uses_dynamic_stack: false
    .vgpr_count:     31
    .vgpr_spill_count: 0
    .wavefront_size: 32
    .workgroup_processor_mode: 1
  - .args:
      - .offset:         0
        .size:           48
        .value_kind:     by_value
      - .offset:         48
        .size:           48
        .value_kind:     by_value
      - .offset:         96
        .size:           48
        .value_kind:     by_value
      - .address_space:  global
        .offset:         144
        .size:           8
        .value_kind:     global_buffer
      - .offset:         152
        .size:           4
        .value_kind:     by_value
      - .offset:         156
        .size:           4
        .value_kind:     by_value
      - .offset:         160
        .size:           4
        .value_kind:     by_value
      - .offset:         164
        .size:           4
        .value_kind:     by_value
      - .offset:         168
        .size:           4
        .value_kind:     by_value
      - .offset:         172
        .size:           4
        .value_kind:     by_value
      - .offset:         176
        .size:           4
        .value_kind:     by_value
      - .offset:         180
        .size:           4
        .value_kind:     by_value
      - .offset:         184
        .size:           4
        .value_kind:     by_value
      - .offset:         192
        .size:           4
        .value_kind:     hidden_block_count_x
      - .offset:         196
        .size:           4
        .value_kind:     hidden_block_count_y
      - .offset:         200
        .size:           4
        .value_kind:     hidden_block_count_z
      - .offset:         204
        .size:           2
        .value_kind:     hidden_group_size_x
      - .offset:         206
        .size:           2
        .value_kind:     hidden_group_size_y
      - .offset:         208
        .size:           2
        .value_kind:     hidden_group_size_z
      - .offset:         210
        .size:           2
        .value_kind:     hidden_remainder_x
      - .offset:         212
        .size:           2
        .value_kind:     hidden_remainder_y
      - .offset:         214
        .size:           2
        .value_kind:     hidden_remainder_z
      - .offset:         232
        .size:           8
        .value_kind:     hidden_global_offset_x
      - .offset:         240
        .size:           8
        .value_kind:     hidden_global_offset_y
      - .offset:         248
        .size:           8
        .value_kind:     hidden_global_offset_z
      - .offset:         256
        .size:           2
        .value_kind:     hidden_grid_dims
    .group_segment_fixed_size: 0
    .kernarg_segment_align: 8
    .kernarg_segment_size: 448
    .language:       OpenCL C
    .language_version:
      - 2
      - 0
    .max_flat_workgroup_size: 1024
    .name:           _ZN2at6native12_GLOBAL__N_128conv_depthwise3d_cuda_kernelIddLin1ELin1ELin1ELi1ELi1ELi1EEEvN5torch10headeronly6detail27GenericPackedTensorAccessorINS5_14TensorAccessorIN3c108ArrayRefIlEEKT_Lm4ENS4_16DefaultPtrTraitsEiEENS_6detail16IndexBoundsCheckILm5EiEESC_Lm5ESD_iEENS6_INS7_ISA_SB_Lm4ESD_iEESH_SB_Lm5ESD_iEESI_PSC_iiiiiiiii
    .private_segment_fixed_size: 0
    .sgpr_count:     68
    .sgpr_spill_count: 0
    .symbol:         _ZN2at6native12_GLOBAL__N_128conv_depthwise3d_cuda_kernelIddLin1ELin1ELin1ELi1ELi1ELi1EEEvN5torch10headeronly6detail27GenericPackedTensorAccessorINS5_14TensorAccessorIN3c108ArrayRefIlEEKT_Lm4ENS4_16DefaultPtrTraitsEiEENS_6detail16IndexBoundsCheckILm5EiEESC_Lm5ESD_iEENS6_INS7_ISA_SB_Lm4ESD_iEESH_SB_Lm5ESD_iEESI_PSC_iiiiiiiii.kd
    .uniform_work_group_size: 1
    .uses_dynamic_stack: false
    .vgpr_count:     32
    .vgpr_spill_count: 0
    .wavefront_size: 32
    .workgroup_processor_mode: 1
  - .args:
      - .offset:         0
        .size:           48
        .value_kind:     by_value
      - .offset:         48
        .size:           48
        .value_kind:     by_value
      - .offset:         96
        .size:           48
        .value_kind:     by_value
      - .address_space:  global
        .offset:         144
        .size:           8
        .value_kind:     global_buffer
      - .offset:         152
        .size:           4
        .value_kind:     by_value
      - .offset:         156
        .size:           4
        .value_kind:     by_value
      - .offset:         160
        .size:           4
        .value_kind:     by_value
      - .offset:         164
        .size:           4
        .value_kind:     by_value
      - .offset:         168
        .size:           4
        .value_kind:     by_value
      - .offset:         172
        .size:           4
        .value_kind:     by_value
      - .offset:         176
        .size:           4
        .value_kind:     by_value
      - .offset:         180
        .size:           4
        .value_kind:     by_value
      - .offset:         184
        .size:           4
        .value_kind:     by_value
      - .offset:         192
        .size:           4
        .value_kind:     hidden_block_count_x
      - .offset:         196
        .size:           4
        .value_kind:     hidden_block_count_y
      - .offset:         200
        .size:           4
        .value_kind:     hidden_block_count_z
      - .offset:         204
        .size:           2
        .value_kind:     hidden_group_size_x
      - .offset:         206
        .size:           2
        .value_kind:     hidden_group_size_y
      - .offset:         208
        .size:           2
        .value_kind:     hidden_group_size_z
      - .offset:         210
        .size:           2
        .value_kind:     hidden_remainder_x
      - .offset:         212
        .size:           2
        .value_kind:     hidden_remainder_y
      - .offset:         214
        .size:           2
        .value_kind:     hidden_remainder_z
      - .offset:         232
        .size:           8
        .value_kind:     hidden_global_offset_x
      - .offset:         240
        .size:           8
        .value_kind:     hidden_global_offset_y
      - .offset:         248
        .size:           8
        .value_kind:     hidden_global_offset_z
      - .offset:         256
        .size:           2
        .value_kind:     hidden_grid_dims
    .group_segment_fixed_size: 0
    .kernarg_segment_align: 8
    .kernarg_segment_size: 448
    .language:       OpenCL C
    .language_version:
      - 2
      - 0
    .max_flat_workgroup_size: 1024
    .name:           _ZN2at6native12_GLOBAL__N_128conv_depthwise3d_cuda_kernelIddLin1ELin1ELin1ELin1ELin1ELin1EEEvN5torch10headeronly6detail27GenericPackedTensorAccessorINS5_14TensorAccessorIN3c108ArrayRefIlEEKT_Lm4ENS4_16DefaultPtrTraitsEiEENS_6detail16IndexBoundsCheckILm5EiEESC_Lm5ESD_iEENS6_INS7_ISA_SB_Lm4ESD_iEESH_SB_Lm5ESD_iEESI_PSC_iiiiiiiii
    .private_segment_fixed_size: 0
    .sgpr_count:     73
    .sgpr_spill_count: 0
    .symbol:         _ZN2at6native12_GLOBAL__N_128conv_depthwise3d_cuda_kernelIddLin1ELin1ELin1ELin1ELin1ELin1EEEvN5torch10headeronly6detail27GenericPackedTensorAccessorINS5_14TensorAccessorIN3c108ArrayRefIlEEKT_Lm4ENS4_16DefaultPtrTraitsEiEENS_6detail16IndexBoundsCheckILm5EiEESC_Lm5ESD_iEENS6_INS7_ISA_SB_Lm4ESD_iEESH_SB_Lm5ESD_iEESI_PSC_iiiiiiiii.kd
    .uniform_work_group_size: 1
    .uses_dynamic_stack: false
    .vgpr_count:     32
    .vgpr_spill_count: 0
    .wavefront_size: 32
    .workgroup_processor_mode: 1
  - .args:
      - .offset:         0
        .size:           48
        .value_kind:     by_value
      - .offset:         48
        .size:           48
        .value_kind:     by_value
      - .offset:         96
        .size:           48
        .value_kind:     by_value
      - .address_space:  global
        .offset:         144
        .size:           8
        .value_kind:     global_buffer
      - .offset:         152
        .size:           4
        .value_kind:     by_value
      - .offset:         156
        .size:           4
        .value_kind:     by_value
      - .offset:         160
        .size:           4
        .value_kind:     by_value
      - .offset:         164
        .size:           4
        .value_kind:     by_value
      - .offset:         168
        .size:           4
        .value_kind:     by_value
      - .offset:         172
        .size:           4
        .value_kind:     by_value
      - .offset:         176
        .size:           4
        .value_kind:     by_value
      - .offset:         180
        .size:           4
        .value_kind:     by_value
      - .offset:         184
        .size:           4
        .value_kind:     by_value
      - .offset:         192
        .size:           4
        .value_kind:     hidden_block_count_x
      - .offset:         196
        .size:           4
        .value_kind:     hidden_block_count_y
      - .offset:         200
        .size:           4
        .value_kind:     hidden_block_count_z
      - .offset:         204
        .size:           2
        .value_kind:     hidden_group_size_x
      - .offset:         206
        .size:           2
        .value_kind:     hidden_group_size_y
      - .offset:         208
        .size:           2
        .value_kind:     hidden_group_size_z
      - .offset:         210
        .size:           2
        .value_kind:     hidden_remainder_x
      - .offset:         212
        .size:           2
        .value_kind:     hidden_remainder_y
      - .offset:         214
        .size:           2
        .value_kind:     hidden_remainder_z
      - .offset:         232
        .size:           8
        .value_kind:     hidden_global_offset_x
      - .offset:         240
        .size:           8
        .value_kind:     hidden_global_offset_y
      - .offset:         248
        .size:           8
        .value_kind:     hidden_global_offset_z
      - .offset:         256
        .size:           2
        .value_kind:     hidden_grid_dims
    .group_segment_fixed_size: 0
    .kernarg_segment_align: 8
    .kernarg_segment_size: 448
    .language:       OpenCL C
    .language_version:
      - 2
      - 0
    .max_flat_workgroup_size: 1024
    .name:           _ZN2at6native12_GLOBAL__N_128conv_depthwise3d_cuda_kernelIffLi3ELi3ELi3ELi1ELi1ELi1EEEvN5torch10headeronly6detail27GenericPackedTensorAccessorINS5_14TensorAccessorIN3c108ArrayRefIlEEKT_Lm4ENS4_16DefaultPtrTraitsEiEENS_6detail16IndexBoundsCheckILm5EiEESC_Lm5ESD_iEENS6_INS7_ISA_SB_Lm4ESD_iEESH_SB_Lm5ESD_iEESI_PSC_iiiiiiiii
    .private_segment_fixed_size: 0
    .sgpr_count:     73
    .sgpr_spill_count: 0
    .symbol:         _ZN2at6native12_GLOBAL__N_128conv_depthwise3d_cuda_kernelIffLi3ELi3ELi3ELi1ELi1ELi1EEEvN5torch10headeronly6detail27GenericPackedTensorAccessorINS5_14TensorAccessorIN3c108ArrayRefIlEEKT_Lm4ENS4_16DefaultPtrTraitsEiEENS_6detail16IndexBoundsCheckILm5EiEESC_Lm5ESD_iEENS6_INS7_ISA_SB_Lm4ESD_iEESH_SB_Lm5ESD_iEESI_PSC_iiiiiiiii.kd
    .uniform_work_group_size: 1
    .uses_dynamic_stack: false
    .vgpr_count:     29
    .vgpr_spill_count: 0
    .wavefront_size: 32
    .workgroup_processor_mode: 1
  - .args:
      - .offset:         0
        .size:           48
        .value_kind:     by_value
      - .offset:         48
        .size:           48
        .value_kind:     by_value
      - .offset:         96
        .size:           48
        .value_kind:     by_value
      - .address_space:  global
        .offset:         144
        .size:           8
        .value_kind:     global_buffer
      - .offset:         152
        .size:           4
        .value_kind:     by_value
      - .offset:         156
        .size:           4
        .value_kind:     by_value
      - .offset:         160
        .size:           4
        .value_kind:     by_value
      - .offset:         164
        .size:           4
        .value_kind:     by_value
      - .offset:         168
        .size:           4
        .value_kind:     by_value
      - .offset:         172
        .size:           4
        .value_kind:     by_value
      - .offset:         176
        .size:           4
        .value_kind:     by_value
      - .offset:         180
        .size:           4
        .value_kind:     by_value
      - .offset:         184
        .size:           4
        .value_kind:     by_value
      - .offset:         192
        .size:           4
        .value_kind:     hidden_block_count_x
      - .offset:         196
        .size:           4
        .value_kind:     hidden_block_count_y
      - .offset:         200
        .size:           4
        .value_kind:     hidden_block_count_z
      - .offset:         204
        .size:           2
        .value_kind:     hidden_group_size_x
      - .offset:         206
        .size:           2
        .value_kind:     hidden_group_size_y
      - .offset:         208
        .size:           2
        .value_kind:     hidden_group_size_z
      - .offset:         210
        .size:           2
        .value_kind:     hidden_remainder_x
      - .offset:         212
        .size:           2
        .value_kind:     hidden_remainder_y
      - .offset:         214
        .size:           2
        .value_kind:     hidden_remainder_z
      - .offset:         232
        .size:           8
        .value_kind:     hidden_global_offset_x
      - .offset:         240
        .size:           8
        .value_kind:     hidden_global_offset_y
      - .offset:         248
        .size:           8
        .value_kind:     hidden_global_offset_z
      - .offset:         256
        .size:           2
        .value_kind:     hidden_grid_dims
    .group_segment_fixed_size: 0
    .kernarg_segment_align: 8
    .kernarg_segment_size: 448
    .language:       OpenCL C
    .language_version:
      - 2
      - 0
    .max_flat_workgroup_size: 1024
    .name:           _ZN2at6native12_GLOBAL__N_128conv_depthwise3d_cuda_kernelIffLin1ELin1ELin1ELi1ELi1ELi1EEEvN5torch10headeronly6detail27GenericPackedTensorAccessorINS5_14TensorAccessorIN3c108ArrayRefIlEEKT_Lm4ENS4_16DefaultPtrTraitsEiEENS_6detail16IndexBoundsCheckILm5EiEESC_Lm5ESD_iEENS6_INS7_ISA_SB_Lm4ESD_iEESH_SB_Lm5ESD_iEESI_PSC_iiiiiiiii
    .private_segment_fixed_size: 0
    .sgpr_count:     68
    .sgpr_spill_count: 0
    .symbol:         _ZN2at6native12_GLOBAL__N_128conv_depthwise3d_cuda_kernelIffLin1ELin1ELin1ELi1ELi1ELi1EEEvN5torch10headeronly6detail27GenericPackedTensorAccessorINS5_14TensorAccessorIN3c108ArrayRefIlEEKT_Lm4ENS4_16DefaultPtrTraitsEiEENS_6detail16IndexBoundsCheckILm5EiEESC_Lm5ESD_iEENS6_INS7_ISA_SB_Lm4ESD_iEESH_SB_Lm5ESD_iEESI_PSC_iiiiiiiii.kd
    .uniform_work_group_size: 1
    .uses_dynamic_stack: false
    .vgpr_count:     30
    .vgpr_spill_count: 0
    .wavefront_size: 32
    .workgroup_processor_mode: 1
  - .args:
      - .offset:         0
        .size:           48
        .value_kind:     by_value
      - .offset:         48
        .size:           48
        .value_kind:     by_value
      - .offset:         96
        .size:           48
        .value_kind:     by_value
      - .address_space:  global
        .offset:         144
        .size:           8
        .value_kind:     global_buffer
      - .offset:         152
        .size:           4
        .value_kind:     by_value
      - .offset:         156
        .size:           4
        .value_kind:     by_value
      - .offset:         160
        .size:           4
        .value_kind:     by_value
      - .offset:         164
        .size:           4
        .value_kind:     by_value
      - .offset:         168
        .size:           4
        .value_kind:     by_value
      - .offset:         172
        .size:           4
        .value_kind:     by_value
      - .offset:         176
        .size:           4
        .value_kind:     by_value
      - .offset:         180
        .size:           4
        .value_kind:     by_value
      - .offset:         184
        .size:           4
        .value_kind:     by_value
      - .offset:         192
        .size:           4
        .value_kind:     hidden_block_count_x
      - .offset:         196
        .size:           4
        .value_kind:     hidden_block_count_y
      - .offset:         200
        .size:           4
        .value_kind:     hidden_block_count_z
      - .offset:         204
        .size:           2
        .value_kind:     hidden_group_size_x
      - .offset:         206
        .size:           2
        .value_kind:     hidden_group_size_y
      - .offset:         208
        .size:           2
        .value_kind:     hidden_group_size_z
      - .offset:         210
        .size:           2
        .value_kind:     hidden_remainder_x
      - .offset:         212
        .size:           2
        .value_kind:     hidden_remainder_y
      - .offset:         214
        .size:           2
        .value_kind:     hidden_remainder_z
      - .offset:         232
        .size:           8
        .value_kind:     hidden_global_offset_x
      - .offset:         240
        .size:           8
        .value_kind:     hidden_global_offset_y
      - .offset:         248
        .size:           8
        .value_kind:     hidden_global_offset_z
      - .offset:         256
        .size:           2
        .value_kind:     hidden_grid_dims
    .group_segment_fixed_size: 0
    .kernarg_segment_align: 8
    .kernarg_segment_size: 448
    .language:       OpenCL C
    .language_version:
      - 2
      - 0
    .max_flat_workgroup_size: 1024
    .name:           _ZN2at6native12_GLOBAL__N_128conv_depthwise3d_cuda_kernelIffLin1ELin1ELin1ELin1ELin1ELin1EEEvN5torch10headeronly6detail27GenericPackedTensorAccessorINS5_14TensorAccessorIN3c108ArrayRefIlEEKT_Lm4ENS4_16DefaultPtrTraitsEiEENS_6detail16IndexBoundsCheckILm5EiEESC_Lm5ESD_iEENS6_INS7_ISA_SB_Lm4ESD_iEESH_SB_Lm5ESD_iEESI_PSC_iiiiiiiii
    .private_segment_fixed_size: 0
    .sgpr_count:     73
    .sgpr_spill_count: 0
    .symbol:         _ZN2at6native12_GLOBAL__N_128conv_depthwise3d_cuda_kernelIffLin1ELin1ELin1ELin1ELin1ELin1EEEvN5torch10headeronly6detail27GenericPackedTensorAccessorINS5_14TensorAccessorIN3c108ArrayRefIlEEKT_Lm4ENS4_16DefaultPtrTraitsEiEENS_6detail16IndexBoundsCheckILm5EiEESC_Lm5ESD_iEENS6_INS7_ISA_SB_Lm4ESD_iEESH_SB_Lm5ESD_iEESI_PSC_iiiiiiiii.kd
    .uniform_work_group_size: 1
    .uses_dynamic_stack: false
    .vgpr_count:     30
    .vgpr_spill_count: 0
    .wavefront_size: 32
    .workgroup_processor_mode: 1
  - .args:
      - .offset:         0
        .size:           48
        .value_kind:     by_value
      - .offset:         48
        .size:           48
        .value_kind:     by_value
      - .offset:         96
        .size:           48
        .value_kind:     by_value
      - .address_space:  global
        .offset:         144
        .size:           8
        .value_kind:     global_buffer
      - .offset:         152
        .size:           4
        .value_kind:     by_value
      - .offset:         156
        .size:           4
        .value_kind:     by_value
      - .offset:         160
        .size:           4
        .value_kind:     by_value
      - .offset:         164
        .size:           4
        .value_kind:     by_value
      - .offset:         168
        .size:           4
        .value_kind:     by_value
      - .offset:         172
        .size:           4
        .value_kind:     by_value
      - .offset:         176
        .size:           4
        .value_kind:     by_value
      - .offset:         180
        .size:           4
        .value_kind:     by_value
      - .offset:         184
        .size:           4
        .value_kind:     by_value
      - .offset:         192
        .size:           4
        .value_kind:     hidden_block_count_x
      - .offset:         196
        .size:           4
        .value_kind:     hidden_block_count_y
      - .offset:         200
        .size:           4
        .value_kind:     hidden_block_count_z
      - .offset:         204
        .size:           2
        .value_kind:     hidden_group_size_x
      - .offset:         206
        .size:           2
        .value_kind:     hidden_group_size_y
      - .offset:         208
        .size:           2
        .value_kind:     hidden_group_size_z
      - .offset:         210
        .size:           2
        .value_kind:     hidden_remainder_x
      - .offset:         212
        .size:           2
        .value_kind:     hidden_remainder_y
      - .offset:         214
        .size:           2
        .value_kind:     hidden_remainder_z
      - .offset:         232
        .size:           8
        .value_kind:     hidden_global_offset_x
      - .offset:         240
        .size:           8
        .value_kind:     hidden_global_offset_y
      - .offset:         248
        .size:           8
        .value_kind:     hidden_global_offset_z
      - .offset:         256
        .size:           2
        .value_kind:     hidden_grid_dims
    .group_segment_fixed_size: 0
    .kernarg_segment_align: 8
    .kernarg_segment_size: 448
    .language:       OpenCL C
    .language_version:
      - 2
      - 0
    .max_flat_workgroup_size: 1024
    .name:           _ZN2at6native12_GLOBAL__N_128conv_depthwise3d_cuda_kernelIN3c104HalfEfLi3ELi3ELi3ELi1ELi1ELi1EEEvN5torch10headeronly6detail27GenericPackedTensorAccessorINS7_14TensorAccessorINS3_8ArrayRefIlEEKT_Lm4ENS6_16DefaultPtrTraitsEiEENS_6detail16IndexBoundsCheckILm5EiEESD_Lm5ESE_iEENS8_INS9_ISB_SC_Lm4ESE_iEESI_SC_Lm5ESE_iEESJ_PSD_iiiiiiiii
    .private_segment_fixed_size: 0
    .sgpr_count:     73
    .sgpr_spill_count: 0
    .symbol:         _ZN2at6native12_GLOBAL__N_128conv_depthwise3d_cuda_kernelIN3c104HalfEfLi3ELi3ELi3ELi1ELi1ELi1EEEvN5torch10headeronly6detail27GenericPackedTensorAccessorINS7_14TensorAccessorINS3_8ArrayRefIlEEKT_Lm4ENS6_16DefaultPtrTraitsEiEENS_6detail16IndexBoundsCheckILm5EiEESD_Lm5ESE_iEENS8_INS9_ISB_SC_Lm4ESE_iEESI_SC_Lm5ESE_iEESJ_PSD_iiiiiiiii.kd
    .uniform_work_group_size: 1
    .uses_dynamic_stack: false
    .vgpr_count:     29
    .vgpr_spill_count: 0
    .wavefront_size: 32
    .workgroup_processor_mode: 1
  - .args:
      - .offset:         0
        .size:           48
        .value_kind:     by_value
      - .offset:         48
        .size:           48
        .value_kind:     by_value
      - .offset:         96
        .size:           48
        .value_kind:     by_value
      - .address_space:  global
        .offset:         144
        .size:           8
        .value_kind:     global_buffer
      - .offset:         152
        .size:           4
        .value_kind:     by_value
      - .offset:         156
        .size:           4
        .value_kind:     by_value
      - .offset:         160
        .size:           4
        .value_kind:     by_value
      - .offset:         164
        .size:           4
        .value_kind:     by_value
      - .offset:         168
        .size:           4
        .value_kind:     by_value
      - .offset:         172
        .size:           4
        .value_kind:     by_value
      - .offset:         176
        .size:           4
        .value_kind:     by_value
      - .offset:         180
        .size:           4
        .value_kind:     by_value
      - .offset:         184
        .size:           4
        .value_kind:     by_value
      - .offset:         192
        .size:           4
        .value_kind:     hidden_block_count_x
      - .offset:         196
        .size:           4
        .value_kind:     hidden_block_count_y
      - .offset:         200
        .size:           4
        .value_kind:     hidden_block_count_z
      - .offset:         204
        .size:           2
        .value_kind:     hidden_group_size_x
      - .offset:         206
        .size:           2
        .value_kind:     hidden_group_size_y
      - .offset:         208
        .size:           2
        .value_kind:     hidden_group_size_z
      - .offset:         210
        .size:           2
        .value_kind:     hidden_remainder_x
      - .offset:         212
        .size:           2
        .value_kind:     hidden_remainder_y
      - .offset:         214
        .size:           2
        .value_kind:     hidden_remainder_z
      - .offset:         232
        .size:           8
        .value_kind:     hidden_global_offset_x
      - .offset:         240
        .size:           8
        .value_kind:     hidden_global_offset_y
      - .offset:         248
        .size:           8
        .value_kind:     hidden_global_offset_z
      - .offset:         256
        .size:           2
        .value_kind:     hidden_grid_dims
    .group_segment_fixed_size: 0
    .kernarg_segment_align: 8
    .kernarg_segment_size: 448
    .language:       OpenCL C
    .language_version:
      - 2
      - 0
    .max_flat_workgroup_size: 1024
    .name:           _ZN2at6native12_GLOBAL__N_128conv_depthwise3d_cuda_kernelIN3c104HalfEfLin1ELin1ELin1ELi1ELi1ELi1EEEvN5torch10headeronly6detail27GenericPackedTensorAccessorINS7_14TensorAccessorINS3_8ArrayRefIlEEKT_Lm4ENS6_16DefaultPtrTraitsEiEENS_6detail16IndexBoundsCheckILm5EiEESD_Lm5ESE_iEENS8_INS9_ISB_SC_Lm4ESE_iEESI_SC_Lm5ESE_iEESJ_PSD_iiiiiiiii
    .private_segment_fixed_size: 0
    .sgpr_count:     68
    .sgpr_spill_count: 0
    .symbol:         _ZN2at6native12_GLOBAL__N_128conv_depthwise3d_cuda_kernelIN3c104HalfEfLin1ELin1ELin1ELi1ELi1ELi1EEEvN5torch10headeronly6detail27GenericPackedTensorAccessorINS7_14TensorAccessorINS3_8ArrayRefIlEEKT_Lm4ENS6_16DefaultPtrTraitsEiEENS_6detail16IndexBoundsCheckILm5EiEESD_Lm5ESE_iEENS8_INS9_ISB_SC_Lm4ESE_iEESI_SC_Lm5ESE_iEESJ_PSD_iiiiiiiii.kd
    .uniform_work_group_size: 1
    .uses_dynamic_stack: false
    .vgpr_count:     30
    .vgpr_spill_count: 0
    .wavefront_size: 32
    .workgroup_processor_mode: 1
  - .args:
      - .offset:         0
        .size:           48
        .value_kind:     by_value
      - .offset:         48
        .size:           48
        .value_kind:     by_value
      - .offset:         96
        .size:           48
        .value_kind:     by_value
      - .address_space:  global
        .offset:         144
        .size:           8
        .value_kind:     global_buffer
      - .offset:         152
        .size:           4
        .value_kind:     by_value
      - .offset:         156
        .size:           4
        .value_kind:     by_value
      - .offset:         160
        .size:           4
        .value_kind:     by_value
      - .offset:         164
        .size:           4
        .value_kind:     by_value
      - .offset:         168
        .size:           4
        .value_kind:     by_value
      - .offset:         172
        .size:           4
        .value_kind:     by_value
      - .offset:         176
        .size:           4
        .value_kind:     by_value
      - .offset:         180
        .size:           4
        .value_kind:     by_value
      - .offset:         184
        .size:           4
        .value_kind:     by_value
      - .offset:         192
        .size:           4
        .value_kind:     hidden_block_count_x
      - .offset:         196
        .size:           4
        .value_kind:     hidden_block_count_y
      - .offset:         200
        .size:           4
        .value_kind:     hidden_block_count_z
      - .offset:         204
        .size:           2
        .value_kind:     hidden_group_size_x
      - .offset:         206
        .size:           2
        .value_kind:     hidden_group_size_y
      - .offset:         208
        .size:           2
        .value_kind:     hidden_group_size_z
      - .offset:         210
        .size:           2
        .value_kind:     hidden_remainder_x
      - .offset:         212
        .size:           2
        .value_kind:     hidden_remainder_y
      - .offset:         214
        .size:           2
        .value_kind:     hidden_remainder_z
      - .offset:         232
        .size:           8
        .value_kind:     hidden_global_offset_x
      - .offset:         240
        .size:           8
        .value_kind:     hidden_global_offset_y
      - .offset:         248
        .size:           8
        .value_kind:     hidden_global_offset_z
      - .offset:         256
        .size:           2
        .value_kind:     hidden_grid_dims
    .group_segment_fixed_size: 0
    .kernarg_segment_align: 8
    .kernarg_segment_size: 448
    .language:       OpenCL C
    .language_version:
      - 2
      - 0
    .max_flat_workgroup_size: 1024
    .name:           _ZN2at6native12_GLOBAL__N_128conv_depthwise3d_cuda_kernelIN3c104HalfEfLin1ELin1ELin1ELin1ELin1ELin1EEEvN5torch10headeronly6detail27GenericPackedTensorAccessorINS7_14TensorAccessorINS3_8ArrayRefIlEEKT_Lm4ENS6_16DefaultPtrTraitsEiEENS_6detail16IndexBoundsCheckILm5EiEESD_Lm5ESE_iEENS8_INS9_ISB_SC_Lm4ESE_iEESI_SC_Lm5ESE_iEESJ_PSD_iiiiiiiii
    .private_segment_fixed_size: 0
    .sgpr_count:     73
    .sgpr_spill_count: 0
    .symbol:         _ZN2at6native12_GLOBAL__N_128conv_depthwise3d_cuda_kernelIN3c104HalfEfLin1ELin1ELin1ELin1ELin1ELin1EEEvN5torch10headeronly6detail27GenericPackedTensorAccessorINS7_14TensorAccessorINS3_8ArrayRefIlEEKT_Lm4ENS6_16DefaultPtrTraitsEiEENS_6detail16IndexBoundsCheckILm5EiEESD_Lm5ESE_iEENS8_INS9_ISB_SC_Lm4ESE_iEESI_SC_Lm5ESE_iEESJ_PSD_iiiiiiiii.kd
    .uniform_work_group_size: 1
    .uses_dynamic_stack: false
    .vgpr_count:     30
    .vgpr_spill_count: 0
    .wavefront_size: 32
    .workgroup_processor_mode: 1
  - .args:
      - .offset:         0
        .size:           48
        .value_kind:     by_value
      - .offset:         48
        .size:           48
        .value_kind:     by_value
      - .offset:         96
        .size:           48
        .value_kind:     by_value
      - .address_space:  global
        .offset:         144
        .size:           8
        .value_kind:     global_buffer
      - .offset:         152
        .size:           4
        .value_kind:     by_value
      - .offset:         156
        .size:           4
        .value_kind:     by_value
      - .offset:         160
        .size:           4
        .value_kind:     by_value
      - .offset:         164
        .size:           4
        .value_kind:     by_value
      - .offset:         168
        .size:           4
        .value_kind:     by_value
      - .offset:         172
        .size:           4
        .value_kind:     by_value
      - .offset:         176
        .size:           4
        .value_kind:     by_value
      - .offset:         180
        .size:           4
        .value_kind:     by_value
      - .offset:         184
        .size:           4
        .value_kind:     by_value
      - .offset:         192
        .size:           4
        .value_kind:     hidden_block_count_x
      - .offset:         196
        .size:           4
        .value_kind:     hidden_block_count_y
      - .offset:         200
        .size:           4
        .value_kind:     hidden_block_count_z
      - .offset:         204
        .size:           2
        .value_kind:     hidden_group_size_x
      - .offset:         206
        .size:           2
        .value_kind:     hidden_group_size_y
      - .offset:         208
        .size:           2
        .value_kind:     hidden_group_size_z
      - .offset:         210
        .size:           2
        .value_kind:     hidden_remainder_x
      - .offset:         212
        .size:           2
        .value_kind:     hidden_remainder_y
      - .offset:         214
        .size:           2
        .value_kind:     hidden_remainder_z
      - .offset:         232
        .size:           8
        .value_kind:     hidden_global_offset_x
      - .offset:         240
        .size:           8
        .value_kind:     hidden_global_offset_y
      - .offset:         248
        .size:           8
        .value_kind:     hidden_global_offset_z
      - .offset:         256
        .size:           2
        .value_kind:     hidden_grid_dims
    .group_segment_fixed_size: 0
    .kernarg_segment_align: 8
    .kernarg_segment_size: 448
    .language:       OpenCL C
    .language_version:
      - 2
      - 0
    .max_flat_workgroup_size: 1024
    .name:           _ZN2at6native12_GLOBAL__N_128conv_depthwise3d_cuda_kernelIN3c108BFloat16EfLi3ELi3ELi3ELi1ELi1ELi1EEEvN5torch10headeronly6detail27GenericPackedTensorAccessorINS7_14TensorAccessorINS3_8ArrayRefIlEEKT_Lm4ENS6_16DefaultPtrTraitsEiEENS_6detail16IndexBoundsCheckILm5EiEESD_Lm5ESE_iEENS8_INS9_ISB_SC_Lm4ESE_iEESI_SC_Lm5ESE_iEESJ_PSD_iiiiiiiii
    .private_segment_fixed_size: 0
    .sgpr_count:     73
    .sgpr_spill_count: 0
    .symbol:         _ZN2at6native12_GLOBAL__N_128conv_depthwise3d_cuda_kernelIN3c108BFloat16EfLi3ELi3ELi3ELi1ELi1ELi1EEEvN5torch10headeronly6detail27GenericPackedTensorAccessorINS7_14TensorAccessorINS3_8ArrayRefIlEEKT_Lm4ENS6_16DefaultPtrTraitsEiEENS_6detail16IndexBoundsCheckILm5EiEESD_Lm5ESE_iEENS8_INS9_ISB_SC_Lm4ESE_iEESI_SC_Lm5ESE_iEESJ_PSD_iiiiiiiii.kd
    .uniform_work_group_size: 1
    .uses_dynamic_stack: false
    .vgpr_count:     29
    .vgpr_spill_count: 0
    .wavefront_size: 32
    .workgroup_processor_mode: 1
  - .args:
      - .offset:         0
        .size:           48
        .value_kind:     by_value
      - .offset:         48
        .size:           48
        .value_kind:     by_value
      - .offset:         96
        .size:           48
        .value_kind:     by_value
      - .address_space:  global
        .offset:         144
        .size:           8
        .value_kind:     global_buffer
      - .offset:         152
        .size:           4
        .value_kind:     by_value
      - .offset:         156
        .size:           4
        .value_kind:     by_value
      - .offset:         160
        .size:           4
        .value_kind:     by_value
      - .offset:         164
        .size:           4
        .value_kind:     by_value
      - .offset:         168
        .size:           4
        .value_kind:     by_value
      - .offset:         172
        .size:           4
        .value_kind:     by_value
      - .offset:         176
        .size:           4
        .value_kind:     by_value
      - .offset:         180
        .size:           4
        .value_kind:     by_value
      - .offset:         184
        .size:           4
        .value_kind:     by_value
      - .offset:         192
        .size:           4
        .value_kind:     hidden_block_count_x
      - .offset:         196
        .size:           4
        .value_kind:     hidden_block_count_y
      - .offset:         200
        .size:           4
        .value_kind:     hidden_block_count_z
      - .offset:         204
        .size:           2
        .value_kind:     hidden_group_size_x
      - .offset:         206
        .size:           2
        .value_kind:     hidden_group_size_y
      - .offset:         208
        .size:           2
        .value_kind:     hidden_group_size_z
      - .offset:         210
        .size:           2
        .value_kind:     hidden_remainder_x
      - .offset:         212
        .size:           2
        .value_kind:     hidden_remainder_y
      - .offset:         214
        .size:           2
        .value_kind:     hidden_remainder_z
      - .offset:         232
        .size:           8
        .value_kind:     hidden_global_offset_x
      - .offset:         240
        .size:           8
        .value_kind:     hidden_global_offset_y
      - .offset:         248
        .size:           8
        .value_kind:     hidden_global_offset_z
      - .offset:         256
        .size:           2
        .value_kind:     hidden_grid_dims
    .group_segment_fixed_size: 0
    .kernarg_segment_align: 8
    .kernarg_segment_size: 448
    .language:       OpenCL C
    .language_version:
      - 2
      - 0
    .max_flat_workgroup_size: 1024
    .name:           _ZN2at6native12_GLOBAL__N_128conv_depthwise3d_cuda_kernelIN3c108BFloat16EfLin1ELin1ELin1ELi1ELi1ELi1EEEvN5torch10headeronly6detail27GenericPackedTensorAccessorINS7_14TensorAccessorINS3_8ArrayRefIlEEKT_Lm4ENS6_16DefaultPtrTraitsEiEENS_6detail16IndexBoundsCheckILm5EiEESD_Lm5ESE_iEENS8_INS9_ISB_SC_Lm4ESE_iEESI_SC_Lm5ESE_iEESJ_PSD_iiiiiiiii
    .private_segment_fixed_size: 0
    .sgpr_count:     68
    .sgpr_spill_count: 0
    .symbol:         _ZN2at6native12_GLOBAL__N_128conv_depthwise3d_cuda_kernelIN3c108BFloat16EfLin1ELin1ELin1ELi1ELi1ELi1EEEvN5torch10headeronly6detail27GenericPackedTensorAccessorINS7_14TensorAccessorINS3_8ArrayRefIlEEKT_Lm4ENS6_16DefaultPtrTraitsEiEENS_6detail16IndexBoundsCheckILm5EiEESD_Lm5ESE_iEENS8_INS9_ISB_SC_Lm4ESE_iEESI_SC_Lm5ESE_iEESJ_PSD_iiiiiiiii.kd
    .uniform_work_group_size: 1
    .uses_dynamic_stack: false
    .vgpr_count:     30
    .vgpr_spill_count: 0
    .wavefront_size: 32
    .workgroup_processor_mode: 1
  - .args:
      - .offset:         0
        .size:           48
        .value_kind:     by_value
      - .offset:         48
        .size:           48
        .value_kind:     by_value
      - .offset:         96
        .size:           48
        .value_kind:     by_value
      - .address_space:  global
        .offset:         144
        .size:           8
        .value_kind:     global_buffer
      - .offset:         152
        .size:           4
        .value_kind:     by_value
      - .offset:         156
        .size:           4
        .value_kind:     by_value
      - .offset:         160
        .size:           4
        .value_kind:     by_value
      - .offset:         164
        .size:           4
        .value_kind:     by_value
      - .offset:         168
        .size:           4
        .value_kind:     by_value
      - .offset:         172
        .size:           4
        .value_kind:     by_value
      - .offset:         176
        .size:           4
        .value_kind:     by_value
      - .offset:         180
        .size:           4
        .value_kind:     by_value
      - .offset:         184
        .size:           4
        .value_kind:     by_value
      - .offset:         192
        .size:           4
        .value_kind:     hidden_block_count_x
      - .offset:         196
        .size:           4
        .value_kind:     hidden_block_count_y
      - .offset:         200
        .size:           4
        .value_kind:     hidden_block_count_z
      - .offset:         204
        .size:           2
        .value_kind:     hidden_group_size_x
      - .offset:         206
        .size:           2
        .value_kind:     hidden_group_size_y
      - .offset:         208
        .size:           2
        .value_kind:     hidden_group_size_z
      - .offset:         210
        .size:           2
        .value_kind:     hidden_remainder_x
      - .offset:         212
        .size:           2
        .value_kind:     hidden_remainder_y
      - .offset:         214
        .size:           2
        .value_kind:     hidden_remainder_z
      - .offset:         232
        .size:           8
        .value_kind:     hidden_global_offset_x
      - .offset:         240
        .size:           8
        .value_kind:     hidden_global_offset_y
      - .offset:         248
        .size:           8
        .value_kind:     hidden_global_offset_z
      - .offset:         256
        .size:           2
        .value_kind:     hidden_grid_dims
    .group_segment_fixed_size: 0
    .kernarg_segment_align: 8
    .kernarg_segment_size: 448
    .language:       OpenCL C
    .language_version:
      - 2
      - 0
    .max_flat_workgroup_size: 1024
    .name:           _ZN2at6native12_GLOBAL__N_128conv_depthwise3d_cuda_kernelIN3c108BFloat16EfLin1ELin1ELin1ELin1ELin1ELin1EEEvN5torch10headeronly6detail27GenericPackedTensorAccessorINS7_14TensorAccessorINS3_8ArrayRefIlEEKT_Lm4ENS6_16DefaultPtrTraitsEiEENS_6detail16IndexBoundsCheckILm5EiEESD_Lm5ESE_iEENS8_INS9_ISB_SC_Lm4ESE_iEESI_SC_Lm5ESE_iEESJ_PSD_iiiiiiiii
    .private_segment_fixed_size: 0
    .sgpr_count:     73
    .sgpr_spill_count: 0
    .symbol:         _ZN2at6native12_GLOBAL__N_128conv_depthwise3d_cuda_kernelIN3c108BFloat16EfLin1ELin1ELin1ELin1ELin1ELin1EEEvN5torch10headeronly6detail27GenericPackedTensorAccessorINS7_14TensorAccessorINS3_8ArrayRefIlEEKT_Lm4ENS6_16DefaultPtrTraitsEiEENS_6detail16IndexBoundsCheckILm5EiEESD_Lm5ESE_iEENS8_INS9_ISB_SC_Lm4ESE_iEESI_SC_Lm5ESE_iEESJ_PSD_iiiiiiiii.kd
    .uniform_work_group_size: 1
    .uses_dynamic_stack: false
    .vgpr_count:     30
    .vgpr_spill_count: 0
    .wavefront_size: 32
    .workgroup_processor_mode: 1
  - .args:
      - .offset:         0
        .size:           48
        .value_kind:     by_value
      - .offset:         48
        .size:           48
        .value_kind:     by_value
      - .offset:         96
        .size:           48
        .value_kind:     by_value
      - .offset:         144
        .size:           4
        .value_kind:     by_value
      - .offset:         148
        .size:           4
        .value_kind:     by_value
      - .offset:         152
        .size:           4
        .value_kind:     by_value
      - .offset:         156
        .size:           4
        .value_kind:     by_value
      - .offset:         160
        .size:           4
        .value_kind:     by_value
      - .offset:         164
        .size:           4
        .value_kind:     by_value
      - .offset:         168
        .size:           4
        .value_kind:     by_value
      - .offset:         172
        .size:           4
        .value_kind:     by_value
      - .offset:         176
        .size:           4
        .value_kind:     by_value
      - .offset:         184
        .size:           4
        .value_kind:     hidden_block_count_x
      - .offset:         188
        .size:           4
        .value_kind:     hidden_block_count_y
      - .offset:         192
        .size:           4
        .value_kind:     hidden_block_count_z
      - .offset:         196
        .size:           2
        .value_kind:     hidden_group_size_x
      - .offset:         198
        .size:           2
        .value_kind:     hidden_group_size_y
      - .offset:         200
        .size:           2
        .value_kind:     hidden_group_size_z
      - .offset:         202
        .size:           2
        .value_kind:     hidden_remainder_x
      - .offset:         204
        .size:           2
        .value_kind:     hidden_remainder_y
      - .offset:         206
        .size:           2
        .value_kind:     hidden_remainder_z
      - .offset:         224
        .size:           8
        .value_kind:     hidden_global_offset_x
      - .offset:         232
        .size:           8
        .value_kind:     hidden_global_offset_y
      - .offset:         240
        .size:           8
        .value_kind:     hidden_global_offset_z
      - .offset:         248
        .size:           2
        .value_kind:     hidden_grid_dims
    .group_segment_fixed_size: 0
    .kernarg_segment_align: 8
    .kernarg_segment_size: 440
    .language:       OpenCL C
    .language_version:
      - 2
      - 0
    .max_flat_workgroup_size: 1024
    .name:           _ZN2at6native12_GLOBAL__N_143conv_depthwise3d_cuda_backward_input_kernelIddLi3ELi3ELi3ELi1ELi1ELi1ELi1ELi1ELi1EEEvN5torch10headeronly6detail27GenericPackedTensorAccessorINS5_14TensorAccessorIN3c108ArrayRefIlEEKT_Lm4ENS4_16DefaultPtrTraitsEiEENS_6detail16IndexBoundsCheckILm5EiEESC_Lm5ESD_iEENS6_INS7_ISA_SB_Lm4ESD_iEESH_SB_Lm5ESD_iEESI_iiiiiiiii
    .private_segment_fixed_size: 0
    .sgpr_count:     72
    .sgpr_spill_count: 0
    .symbol:         _ZN2at6native12_GLOBAL__N_143conv_depthwise3d_cuda_backward_input_kernelIddLi3ELi3ELi3ELi1ELi1ELi1ELi1ELi1ELi1EEEvN5torch10headeronly6detail27GenericPackedTensorAccessorINS5_14TensorAccessorIN3c108ArrayRefIlEEKT_Lm4ENS4_16DefaultPtrTraitsEiEENS_6detail16IndexBoundsCheckILm5EiEESC_Lm5ESD_iEENS6_INS7_ISA_SB_Lm4ESD_iEESH_SB_Lm5ESD_iEESI_iiiiiiiii.kd
    .uniform_work_group_size: 1
    .uses_dynamic_stack: false
    .vgpr_count:     184
    .vgpr_spill_count: 0
    .wavefront_size: 32
    .workgroup_processor_mode: 1
  - .args:
      - .offset:         0
        .size:           48
        .value_kind:     by_value
      - .offset:         48
        .size:           48
        .value_kind:     by_value
      - .offset:         96
        .size:           48
        .value_kind:     by_value
      - .offset:         144
        .size:           4
        .value_kind:     by_value
      - .offset:         148
        .size:           4
        .value_kind:     by_value
      - .offset:         152
        .size:           4
        .value_kind:     by_value
      - .offset:         156
        .size:           4
        .value_kind:     by_value
      - .offset:         160
        .size:           4
        .value_kind:     by_value
      - .offset:         164
        .size:           4
        .value_kind:     by_value
      - .offset:         168
        .size:           4
        .value_kind:     by_value
      - .offset:         172
        .size:           4
        .value_kind:     by_value
      - .offset:         176
        .size:           4
        .value_kind:     by_value
      - .offset:         184
        .size:           4
        .value_kind:     hidden_block_count_x
      - .offset:         188
        .size:           4
        .value_kind:     hidden_block_count_y
      - .offset:         192
        .size:           4
        .value_kind:     hidden_block_count_z
      - .offset:         196
        .size:           2
        .value_kind:     hidden_group_size_x
      - .offset:         198
        .size:           2
        .value_kind:     hidden_group_size_y
      - .offset:         200
        .size:           2
        .value_kind:     hidden_group_size_z
      - .offset:         202
        .size:           2
        .value_kind:     hidden_remainder_x
      - .offset:         204
        .size:           2
        .value_kind:     hidden_remainder_y
      - .offset:         206
        .size:           2
        .value_kind:     hidden_remainder_z
      - .offset:         224
        .size:           8
        .value_kind:     hidden_global_offset_x
      - .offset:         232
        .size:           8
        .value_kind:     hidden_global_offset_y
      - .offset:         240
        .size:           8
        .value_kind:     hidden_global_offset_z
      - .offset:         248
        .size:           2
        .value_kind:     hidden_grid_dims
    .group_segment_fixed_size: 0
    .kernarg_segment_align: 8
    .kernarg_segment_size: 440
    .language:       OpenCL C
    .language_version:
      - 2
      - 0
    .max_flat_workgroup_size: 1024
    .name:           _ZN2at6native12_GLOBAL__N_143conv_depthwise3d_cuda_backward_input_kernelIddLi3ELi3ELi3ELi1ELi1ELi1ELin1ELin1ELin1EEEvN5torch10headeronly6detail27GenericPackedTensorAccessorINS5_14TensorAccessorIN3c108ArrayRefIlEEKT_Lm4ENS4_16DefaultPtrTraitsEiEENS_6detail16IndexBoundsCheckILm5EiEESC_Lm5ESD_iEENS6_INS7_ISA_SB_Lm4ESD_iEESH_SB_Lm5ESD_iEESI_iiiiiiiii
    .private_segment_fixed_size: 0
    .sgpr_count:     107
    .sgpr_spill_count: 5
    .symbol:         _ZN2at6native12_GLOBAL__N_143conv_depthwise3d_cuda_backward_input_kernelIddLi3ELi3ELi3ELi1ELi1ELi1ELin1ELin1ELin1EEEvN5torch10headeronly6detail27GenericPackedTensorAccessorINS5_14TensorAccessorIN3c108ArrayRefIlEEKT_Lm4ENS4_16DefaultPtrTraitsEiEENS_6detail16IndexBoundsCheckILm5EiEESC_Lm5ESD_iEENS6_INS7_ISA_SB_Lm4ESD_iEESH_SB_Lm5ESD_iEESI_iiiiiiiii.kd
    .uniform_work_group_size: 1
    .uses_dynamic_stack: false
    .vgpr_count:     188
    .vgpr_spill_count: 0
    .wavefront_size: 32
    .workgroup_processor_mode: 1
  - .args:
      - .offset:         0
        .size:           48
        .value_kind:     by_value
      - .offset:         48
        .size:           48
        .value_kind:     by_value
      - .offset:         96
        .size:           48
        .value_kind:     by_value
      - .offset:         144
        .size:           4
        .value_kind:     by_value
      - .offset:         148
        .size:           4
        .value_kind:     by_value
      - .offset:         152
        .size:           4
        .value_kind:     by_value
      - .offset:         156
        .size:           4
        .value_kind:     by_value
      - .offset:         160
        .size:           4
        .value_kind:     by_value
      - .offset:         164
        .size:           4
        .value_kind:     by_value
      - .offset:         168
        .size:           4
        .value_kind:     by_value
      - .offset:         172
        .size:           4
        .value_kind:     by_value
      - .offset:         176
        .size:           4
        .value_kind:     by_value
      - .offset:         184
        .size:           4
        .value_kind:     hidden_block_count_x
      - .offset:         188
        .size:           4
        .value_kind:     hidden_block_count_y
      - .offset:         192
        .size:           4
        .value_kind:     hidden_block_count_z
      - .offset:         196
        .size:           2
        .value_kind:     hidden_group_size_x
      - .offset:         198
        .size:           2
        .value_kind:     hidden_group_size_y
      - .offset:         200
        .size:           2
        .value_kind:     hidden_group_size_z
      - .offset:         202
        .size:           2
        .value_kind:     hidden_remainder_x
      - .offset:         204
        .size:           2
        .value_kind:     hidden_remainder_y
      - .offset:         206
        .size:           2
        .value_kind:     hidden_remainder_z
      - .offset:         224
        .size:           8
        .value_kind:     hidden_global_offset_x
      - .offset:         232
        .size:           8
        .value_kind:     hidden_global_offset_y
      - .offset:         240
        .size:           8
        .value_kind:     hidden_global_offset_z
      - .offset:         248
        .size:           2
        .value_kind:     hidden_grid_dims
    .group_segment_fixed_size: 0
    .kernarg_segment_align: 8
    .kernarg_segment_size: 440
    .language:       OpenCL C
    .language_version:
      - 2
      - 0
    .max_flat_workgroup_size: 1024
    .name:           _ZN2at6native12_GLOBAL__N_143conv_depthwise3d_cuda_backward_input_kernelIddLi3ELi3ELi3ELin1ELin1ELin1ELi1ELi1ELi1EEEvN5torch10headeronly6detail27GenericPackedTensorAccessorINS5_14TensorAccessorIN3c108ArrayRefIlEEKT_Lm4ENS4_16DefaultPtrTraitsEiEENS_6detail16IndexBoundsCheckILm5EiEESC_Lm5ESD_iEENS6_INS7_ISA_SB_Lm4ESD_iEESH_SB_Lm5ESD_iEESI_iiiiiiiii
    .private_segment_fixed_size: 0
    .sgpr_count:     78
    .sgpr_spill_count: 0
    .symbol:         _ZN2at6native12_GLOBAL__N_143conv_depthwise3d_cuda_backward_input_kernelIddLi3ELi3ELi3ELin1ELin1ELin1ELi1ELi1ELi1EEEvN5torch10headeronly6detail27GenericPackedTensorAccessorINS5_14TensorAccessorIN3c108ArrayRefIlEEKT_Lm4ENS4_16DefaultPtrTraitsEiEENS_6detail16IndexBoundsCheckILm5EiEESC_Lm5ESD_iEENS6_INS7_ISA_SB_Lm4ESD_iEESH_SB_Lm5ESD_iEESI_iiiiiiiii.kd
    .uniform_work_group_size: 1
    .uses_dynamic_stack: false
    .vgpr_count:     184
    .vgpr_spill_count: 0
    .wavefront_size: 32
    .workgroup_processor_mode: 1
  - .args:
      - .offset:         0
        .size:           48
        .value_kind:     by_value
      - .offset:         48
        .size:           48
        .value_kind:     by_value
      - .offset:         96
        .size:           48
        .value_kind:     by_value
      - .offset:         144
        .size:           4
        .value_kind:     by_value
      - .offset:         148
        .size:           4
        .value_kind:     by_value
      - .offset:         152
        .size:           4
        .value_kind:     by_value
      - .offset:         156
        .size:           4
        .value_kind:     by_value
      - .offset:         160
        .size:           4
        .value_kind:     by_value
      - .offset:         164
        .size:           4
        .value_kind:     by_value
      - .offset:         168
        .size:           4
        .value_kind:     by_value
      - .offset:         172
        .size:           4
        .value_kind:     by_value
      - .offset:         176
        .size:           4
        .value_kind:     by_value
      - .offset:         184
        .size:           4
        .value_kind:     hidden_block_count_x
      - .offset:         188
        .size:           4
        .value_kind:     hidden_block_count_y
      - .offset:         192
        .size:           4
        .value_kind:     hidden_block_count_z
      - .offset:         196
        .size:           2
        .value_kind:     hidden_group_size_x
      - .offset:         198
        .size:           2
        .value_kind:     hidden_group_size_y
      - .offset:         200
        .size:           2
        .value_kind:     hidden_group_size_z
      - .offset:         202
        .size:           2
        .value_kind:     hidden_remainder_x
      - .offset:         204
        .size:           2
        .value_kind:     hidden_remainder_y
      - .offset:         206
        .size:           2
        .value_kind:     hidden_remainder_z
      - .offset:         224
        .size:           8
        .value_kind:     hidden_global_offset_x
      - .offset:         232
        .size:           8
        .value_kind:     hidden_global_offset_y
      - .offset:         240
        .size:           8
        .value_kind:     hidden_global_offset_z
      - .offset:         248
        .size:           2
        .value_kind:     hidden_grid_dims
    .group_segment_fixed_size: 0
    .kernarg_segment_align: 8
    .kernarg_segment_size: 440
    .language:       OpenCL C
    .language_version:
      - 2
      - 0
    .max_flat_workgroup_size: 1024
    .name:           _ZN2at6native12_GLOBAL__N_143conv_depthwise3d_cuda_backward_input_kernelIddLi3ELi3ELi3ELin1ELin1ELin1ELin1ELin1ELin1EEEvN5torch10headeronly6detail27GenericPackedTensorAccessorINS5_14TensorAccessorIN3c108ArrayRefIlEEKT_Lm4ENS4_16DefaultPtrTraitsEiEENS_6detail16IndexBoundsCheckILm5EiEESC_Lm5ESD_iEENS6_INS7_ISA_SB_Lm4ESD_iEESH_SB_Lm5ESD_iEESI_iiiiiiiii
    .private_segment_fixed_size: 0
    .sgpr_count:     107
    .sgpr_spill_count: 10
    .symbol:         _ZN2at6native12_GLOBAL__N_143conv_depthwise3d_cuda_backward_input_kernelIddLi3ELi3ELi3ELin1ELin1ELin1ELin1ELin1ELin1EEEvN5torch10headeronly6detail27GenericPackedTensorAccessorINS5_14TensorAccessorIN3c108ArrayRefIlEEKT_Lm4ENS4_16DefaultPtrTraitsEiEENS_6detail16IndexBoundsCheckILm5EiEESC_Lm5ESD_iEENS6_INS7_ISA_SB_Lm4ESD_iEESH_SB_Lm5ESD_iEESI_iiiiiiiii.kd
    .uniform_work_group_size: 1
    .uses_dynamic_stack: false
    .vgpr_count:     188
    .vgpr_spill_count: 0
    .wavefront_size: 32
    .workgroup_processor_mode: 1
  - .args:
      - .offset:         0
        .size:           48
        .value_kind:     by_value
      - .offset:         48
        .size:           48
        .value_kind:     by_value
      - .offset:         96
        .size:           48
        .value_kind:     by_value
      - .offset:         144
        .size:           4
        .value_kind:     by_value
      - .offset:         148
        .size:           4
        .value_kind:     by_value
      - .offset:         152
        .size:           4
        .value_kind:     by_value
      - .offset:         156
        .size:           4
        .value_kind:     by_value
      - .offset:         160
        .size:           4
        .value_kind:     by_value
      - .offset:         164
        .size:           4
        .value_kind:     by_value
      - .offset:         168
        .size:           4
        .value_kind:     by_value
      - .offset:         172
        .size:           4
        .value_kind:     by_value
      - .offset:         176
        .size:           4
        .value_kind:     by_value
      - .offset:         184
        .size:           4
        .value_kind:     hidden_block_count_x
      - .offset:         188
        .size:           4
        .value_kind:     hidden_block_count_y
      - .offset:         192
        .size:           4
        .value_kind:     hidden_block_count_z
      - .offset:         196
        .size:           2
        .value_kind:     hidden_group_size_x
      - .offset:         198
        .size:           2
        .value_kind:     hidden_group_size_y
      - .offset:         200
        .size:           2
        .value_kind:     hidden_group_size_z
      - .offset:         202
        .size:           2
        .value_kind:     hidden_remainder_x
      - .offset:         204
        .size:           2
        .value_kind:     hidden_remainder_y
      - .offset:         206
        .size:           2
        .value_kind:     hidden_remainder_z
      - .offset:         224
        .size:           8
        .value_kind:     hidden_global_offset_x
      - .offset:         232
        .size:           8
        .value_kind:     hidden_global_offset_y
      - .offset:         240
        .size:           8
        .value_kind:     hidden_global_offset_z
      - .offset:         248
        .size:           2
        .value_kind:     hidden_grid_dims
    .group_segment_fixed_size: 0
    .kernarg_segment_align: 8
    .kernarg_segment_size: 440
    .language:       OpenCL C
    .language_version:
      - 2
      - 0
    .max_flat_workgroup_size: 1024
    .name:           _ZN2at6native12_GLOBAL__N_143conv_depthwise3d_cuda_backward_input_kernelIddLin1ELin1ELin1ELin1ELin1ELin1ELin1ELin1ELin1EEEvN5torch10headeronly6detail27GenericPackedTensorAccessorINS5_14TensorAccessorIN3c108ArrayRefIlEEKT_Lm4ENS4_16DefaultPtrTraitsEiEENS_6detail16IndexBoundsCheckILm5EiEESC_Lm5ESD_iEENS6_INS7_ISA_SB_Lm4ESD_iEESH_SB_Lm5ESD_iEESI_iiiiiiiii
    .private_segment_fixed_size: 0
    .sgpr_count:     70
    .sgpr_spill_count: 0
    .symbol:         _ZN2at6native12_GLOBAL__N_143conv_depthwise3d_cuda_backward_input_kernelIddLin1ELin1ELin1ELin1ELin1ELin1ELin1ELin1ELin1EEEvN5torch10headeronly6detail27GenericPackedTensorAccessorINS5_14TensorAccessorIN3c108ArrayRefIlEEKT_Lm4ENS4_16DefaultPtrTraitsEiEENS_6detail16IndexBoundsCheckILm5EiEESC_Lm5ESD_iEENS6_INS7_ISA_SB_Lm4ESD_iEESH_SB_Lm5ESD_iEESI_iiiiiiiii.kd
    .uniform_work_group_size: 1
    .uses_dynamic_stack: false
    .vgpr_count:     36
    .vgpr_spill_count: 0
    .wavefront_size: 32
    .workgroup_processor_mode: 1
  - .args:
      - .offset:         0
        .size:           48
        .value_kind:     by_value
      - .offset:         48
        .size:           48
        .value_kind:     by_value
      - .offset:         96
        .size:           48
        .value_kind:     by_value
      - .offset:         144
        .size:           4
        .value_kind:     by_value
      - .offset:         148
        .size:           4
        .value_kind:     by_value
      - .offset:         152
        .size:           4
        .value_kind:     by_value
      - .offset:         156
        .size:           4
        .value_kind:     by_value
      - .offset:         160
        .size:           4
        .value_kind:     by_value
      - .offset:         164
        .size:           4
        .value_kind:     by_value
      - .offset:         168
        .size:           4
        .value_kind:     by_value
      - .offset:         172
        .size:           4
        .value_kind:     by_value
      - .offset:         176
        .size:           4
        .value_kind:     by_value
      - .offset:         184
        .size:           4
        .value_kind:     hidden_block_count_x
      - .offset:         188
        .size:           4
        .value_kind:     hidden_block_count_y
      - .offset:         192
        .size:           4
        .value_kind:     hidden_block_count_z
      - .offset:         196
        .size:           2
        .value_kind:     hidden_group_size_x
      - .offset:         198
        .size:           2
        .value_kind:     hidden_group_size_y
      - .offset:         200
        .size:           2
        .value_kind:     hidden_group_size_z
      - .offset:         202
        .size:           2
        .value_kind:     hidden_remainder_x
      - .offset:         204
        .size:           2
        .value_kind:     hidden_remainder_y
      - .offset:         206
        .size:           2
        .value_kind:     hidden_remainder_z
      - .offset:         224
        .size:           8
        .value_kind:     hidden_global_offset_x
      - .offset:         232
        .size:           8
        .value_kind:     hidden_global_offset_y
      - .offset:         240
        .size:           8
        .value_kind:     hidden_global_offset_z
      - .offset:         248
        .size:           2
        .value_kind:     hidden_grid_dims
    .group_segment_fixed_size: 0
    .kernarg_segment_align: 8
    .kernarg_segment_size: 440
    .language:       OpenCL C
    .language_version:
      - 2
      - 0
    .max_flat_workgroup_size: 1024
    .name:           _ZN2at6native12_GLOBAL__N_143conv_depthwise3d_cuda_backward_input_kernelIffLi3ELi3ELi3ELi1ELi1ELi1ELi1ELi1ELi1EEEvN5torch10headeronly6detail27GenericPackedTensorAccessorINS5_14TensorAccessorIN3c108ArrayRefIlEEKT_Lm4ENS4_16DefaultPtrTraitsEiEENS_6detail16IndexBoundsCheckILm5EiEESC_Lm5ESD_iEENS6_INS7_ISA_SB_Lm4ESD_iEESH_SB_Lm5ESD_iEESI_iiiiiiiii
    .private_segment_fixed_size: 0
    .sgpr_count:     72
    .sgpr_spill_count: 0
    .symbol:         _ZN2at6native12_GLOBAL__N_143conv_depthwise3d_cuda_backward_input_kernelIffLi3ELi3ELi3ELi1ELi1ELi1ELi1ELi1ELi1EEEvN5torch10headeronly6detail27GenericPackedTensorAccessorINS5_14TensorAccessorIN3c108ArrayRefIlEEKT_Lm4ENS4_16DefaultPtrTraitsEiEENS_6detail16IndexBoundsCheckILm5EiEESC_Lm5ESD_iEENS6_INS7_ISA_SB_Lm4ESD_iEESH_SB_Lm5ESD_iEESI_iiiiiiiii.kd
    .uniform_work_group_size: 1
    .uses_dynamic_stack: false
    .vgpr_count:     127
    .vgpr_spill_count: 0
    .wavefront_size: 32
    .workgroup_processor_mode: 1
  - .args:
      - .offset:         0
        .size:           48
        .value_kind:     by_value
      - .offset:         48
        .size:           48
        .value_kind:     by_value
      - .offset:         96
        .size:           48
        .value_kind:     by_value
      - .offset:         144
        .size:           4
        .value_kind:     by_value
      - .offset:         148
        .size:           4
        .value_kind:     by_value
      - .offset:         152
        .size:           4
        .value_kind:     by_value
      - .offset:         156
        .size:           4
        .value_kind:     by_value
      - .offset:         160
        .size:           4
        .value_kind:     by_value
      - .offset:         164
        .size:           4
        .value_kind:     by_value
      - .offset:         168
        .size:           4
        .value_kind:     by_value
      - .offset:         172
        .size:           4
        .value_kind:     by_value
      - .offset:         176
        .size:           4
        .value_kind:     by_value
      - .offset:         184
        .size:           4
        .value_kind:     hidden_block_count_x
      - .offset:         188
        .size:           4
        .value_kind:     hidden_block_count_y
      - .offset:         192
        .size:           4
        .value_kind:     hidden_block_count_z
      - .offset:         196
        .size:           2
        .value_kind:     hidden_group_size_x
      - .offset:         198
        .size:           2
        .value_kind:     hidden_group_size_y
      - .offset:         200
        .size:           2
        .value_kind:     hidden_group_size_z
      - .offset:         202
        .size:           2
        .value_kind:     hidden_remainder_x
      - .offset:         204
        .size:           2
        .value_kind:     hidden_remainder_y
      - .offset:         206
        .size:           2
        .value_kind:     hidden_remainder_z
      - .offset:         224
        .size:           8
        .value_kind:     hidden_global_offset_x
      - .offset:         232
        .size:           8
        .value_kind:     hidden_global_offset_y
      - .offset:         240
        .size:           8
        .value_kind:     hidden_global_offset_z
      - .offset:         248
        .size:           2
        .value_kind:     hidden_grid_dims
    .group_segment_fixed_size: 0
    .kernarg_segment_align: 8
    .kernarg_segment_size: 440
    .language:       OpenCL C
    .language_version:
      - 2
      - 0
    .max_flat_workgroup_size: 1024
    .name:           _ZN2at6native12_GLOBAL__N_143conv_depthwise3d_cuda_backward_input_kernelIffLi3ELi3ELi3ELi1ELi1ELi1ELin1ELin1ELin1EEEvN5torch10headeronly6detail27GenericPackedTensorAccessorINS5_14TensorAccessorIN3c108ArrayRefIlEEKT_Lm4ENS4_16DefaultPtrTraitsEiEENS_6detail16IndexBoundsCheckILm5EiEESC_Lm5ESD_iEENS6_INS7_ISA_SB_Lm4ESD_iEESH_SB_Lm5ESD_iEESI_iiiiiiiii
    .private_segment_fixed_size: 0
    .sgpr_count:     107
    .sgpr_spill_count: 5
    .symbol:         _ZN2at6native12_GLOBAL__N_143conv_depthwise3d_cuda_backward_input_kernelIffLi3ELi3ELi3ELi1ELi1ELi1ELin1ELin1ELin1EEEvN5torch10headeronly6detail27GenericPackedTensorAccessorINS5_14TensorAccessorIN3c108ArrayRefIlEEKT_Lm4ENS4_16DefaultPtrTraitsEiEENS_6detail16IndexBoundsCheckILm5EiEESC_Lm5ESD_iEENS6_INS7_ISA_SB_Lm4ESD_iEESH_SB_Lm5ESD_iEESI_iiiiiiiii.kd
    .uniform_work_group_size: 1
    .uses_dynamic_stack: false
    .vgpr_count:     131
    .vgpr_spill_count: 0
    .wavefront_size: 32
    .workgroup_processor_mode: 1
  - .args:
      - .offset:         0
        .size:           48
        .value_kind:     by_value
      - .offset:         48
        .size:           48
        .value_kind:     by_value
      - .offset:         96
        .size:           48
        .value_kind:     by_value
      - .offset:         144
        .size:           4
        .value_kind:     by_value
      - .offset:         148
        .size:           4
        .value_kind:     by_value
      - .offset:         152
        .size:           4
        .value_kind:     by_value
      - .offset:         156
        .size:           4
        .value_kind:     by_value
      - .offset:         160
        .size:           4
        .value_kind:     by_value
      - .offset:         164
        .size:           4
        .value_kind:     by_value
      - .offset:         168
        .size:           4
        .value_kind:     by_value
      - .offset:         172
        .size:           4
        .value_kind:     by_value
      - .offset:         176
        .size:           4
        .value_kind:     by_value
      - .offset:         184
        .size:           4
        .value_kind:     hidden_block_count_x
      - .offset:         188
        .size:           4
        .value_kind:     hidden_block_count_y
      - .offset:         192
        .size:           4
        .value_kind:     hidden_block_count_z
      - .offset:         196
        .size:           2
        .value_kind:     hidden_group_size_x
      - .offset:         198
        .size:           2
        .value_kind:     hidden_group_size_y
      - .offset:         200
        .size:           2
        .value_kind:     hidden_group_size_z
      - .offset:         202
        .size:           2
        .value_kind:     hidden_remainder_x
      - .offset:         204
        .size:           2
        .value_kind:     hidden_remainder_y
      - .offset:         206
        .size:           2
        .value_kind:     hidden_remainder_z
      - .offset:         224
        .size:           8
        .value_kind:     hidden_global_offset_x
      - .offset:         232
        .size:           8
        .value_kind:     hidden_global_offset_y
      - .offset:         240
        .size:           8
        .value_kind:     hidden_global_offset_z
      - .offset:         248
        .size:           2
        .value_kind:     hidden_grid_dims
    .group_segment_fixed_size: 0
    .kernarg_segment_align: 8
    .kernarg_segment_size: 440
    .language:       OpenCL C
    .language_version:
      - 2
      - 0
    .max_flat_workgroup_size: 1024
    .name:           _ZN2at6native12_GLOBAL__N_143conv_depthwise3d_cuda_backward_input_kernelIffLi3ELi3ELi3ELin1ELin1ELin1ELi1ELi1ELi1EEEvN5torch10headeronly6detail27GenericPackedTensorAccessorINS5_14TensorAccessorIN3c108ArrayRefIlEEKT_Lm4ENS4_16DefaultPtrTraitsEiEENS_6detail16IndexBoundsCheckILm5EiEESC_Lm5ESD_iEENS6_INS7_ISA_SB_Lm4ESD_iEESH_SB_Lm5ESD_iEESI_iiiiiiiii
    .private_segment_fixed_size: 0
    .sgpr_count:     78
    .sgpr_spill_count: 0
    .symbol:         _ZN2at6native12_GLOBAL__N_143conv_depthwise3d_cuda_backward_input_kernelIffLi3ELi3ELi3ELin1ELin1ELin1ELi1ELi1ELi1EEEvN5torch10headeronly6detail27GenericPackedTensorAccessorINS5_14TensorAccessorIN3c108ArrayRefIlEEKT_Lm4ENS4_16DefaultPtrTraitsEiEENS_6detail16IndexBoundsCheckILm5EiEESC_Lm5ESD_iEENS6_INS7_ISA_SB_Lm4ESD_iEESH_SB_Lm5ESD_iEESI_iiiiiiiii.kd
    .uniform_work_group_size: 1
    .uses_dynamic_stack: false
    .vgpr_count:     127
    .vgpr_spill_count: 0
    .wavefront_size: 32
    .workgroup_processor_mode: 1
  - .args:
      - .offset:         0
        .size:           48
        .value_kind:     by_value
      - .offset:         48
        .size:           48
        .value_kind:     by_value
      - .offset:         96
        .size:           48
        .value_kind:     by_value
      - .offset:         144
        .size:           4
        .value_kind:     by_value
      - .offset:         148
        .size:           4
        .value_kind:     by_value
      - .offset:         152
        .size:           4
        .value_kind:     by_value
      - .offset:         156
        .size:           4
        .value_kind:     by_value
      - .offset:         160
        .size:           4
        .value_kind:     by_value
      - .offset:         164
        .size:           4
        .value_kind:     by_value
      - .offset:         168
        .size:           4
        .value_kind:     by_value
      - .offset:         172
        .size:           4
        .value_kind:     by_value
      - .offset:         176
        .size:           4
        .value_kind:     by_value
      - .offset:         184
        .size:           4
        .value_kind:     hidden_block_count_x
      - .offset:         188
        .size:           4
        .value_kind:     hidden_block_count_y
      - .offset:         192
        .size:           4
        .value_kind:     hidden_block_count_z
      - .offset:         196
        .size:           2
        .value_kind:     hidden_group_size_x
      - .offset:         198
        .size:           2
        .value_kind:     hidden_group_size_y
      - .offset:         200
        .size:           2
        .value_kind:     hidden_group_size_z
      - .offset:         202
        .size:           2
        .value_kind:     hidden_remainder_x
      - .offset:         204
        .size:           2
        .value_kind:     hidden_remainder_y
      - .offset:         206
        .size:           2
        .value_kind:     hidden_remainder_z
      - .offset:         224
        .size:           8
        .value_kind:     hidden_global_offset_x
      - .offset:         232
        .size:           8
        .value_kind:     hidden_global_offset_y
      - .offset:         240
        .size:           8
        .value_kind:     hidden_global_offset_z
      - .offset:         248
        .size:           2
        .value_kind:     hidden_grid_dims
    .group_segment_fixed_size: 0
    .kernarg_segment_align: 8
    .kernarg_segment_size: 440
    .language:       OpenCL C
    .language_version:
      - 2
      - 0
    .max_flat_workgroup_size: 1024
    .name:           _ZN2at6native12_GLOBAL__N_143conv_depthwise3d_cuda_backward_input_kernelIffLi3ELi3ELi3ELin1ELin1ELin1ELin1ELin1ELin1EEEvN5torch10headeronly6detail27GenericPackedTensorAccessorINS5_14TensorAccessorIN3c108ArrayRefIlEEKT_Lm4ENS4_16DefaultPtrTraitsEiEENS_6detail16IndexBoundsCheckILm5EiEESC_Lm5ESD_iEENS6_INS7_ISA_SB_Lm4ESD_iEESH_SB_Lm5ESD_iEESI_iiiiiiiii
    .private_segment_fixed_size: 0
    .sgpr_count:     107
    .sgpr_spill_count: 13
    .symbol:         _ZN2at6native12_GLOBAL__N_143conv_depthwise3d_cuda_backward_input_kernelIffLi3ELi3ELi3ELin1ELin1ELin1ELin1ELin1ELin1EEEvN5torch10headeronly6detail27GenericPackedTensorAccessorINS5_14TensorAccessorIN3c108ArrayRefIlEEKT_Lm4ENS4_16DefaultPtrTraitsEiEENS_6detail16IndexBoundsCheckILm5EiEESC_Lm5ESD_iEENS6_INS7_ISA_SB_Lm4ESD_iEESH_SB_Lm5ESD_iEESI_iiiiiiiii.kd
    .uniform_work_group_size: 1
    .uses_dynamic_stack: false
    .vgpr_count:     131
    .vgpr_spill_count: 0
    .wavefront_size: 32
    .workgroup_processor_mode: 1
  - .args:
      - .offset:         0
        .size:           48
        .value_kind:     by_value
      - .offset:         48
        .size:           48
        .value_kind:     by_value
      - .offset:         96
        .size:           48
        .value_kind:     by_value
      - .offset:         144
        .size:           4
        .value_kind:     by_value
      - .offset:         148
        .size:           4
        .value_kind:     by_value
      - .offset:         152
        .size:           4
        .value_kind:     by_value
      - .offset:         156
        .size:           4
        .value_kind:     by_value
      - .offset:         160
        .size:           4
        .value_kind:     by_value
      - .offset:         164
        .size:           4
        .value_kind:     by_value
      - .offset:         168
        .size:           4
        .value_kind:     by_value
      - .offset:         172
        .size:           4
        .value_kind:     by_value
      - .offset:         176
        .size:           4
        .value_kind:     by_value
      - .offset:         184
        .size:           4
        .value_kind:     hidden_block_count_x
      - .offset:         188
        .size:           4
        .value_kind:     hidden_block_count_y
      - .offset:         192
        .size:           4
        .value_kind:     hidden_block_count_z
      - .offset:         196
        .size:           2
        .value_kind:     hidden_group_size_x
      - .offset:         198
        .size:           2
        .value_kind:     hidden_group_size_y
      - .offset:         200
        .size:           2
        .value_kind:     hidden_group_size_z
      - .offset:         202
        .size:           2
        .value_kind:     hidden_remainder_x
      - .offset:         204
        .size:           2
        .value_kind:     hidden_remainder_y
      - .offset:         206
        .size:           2
        .value_kind:     hidden_remainder_z
      - .offset:         224
        .size:           8
        .value_kind:     hidden_global_offset_x
      - .offset:         232
        .size:           8
        .value_kind:     hidden_global_offset_y
      - .offset:         240
        .size:           8
        .value_kind:     hidden_global_offset_z
      - .offset:         248
        .size:           2
        .value_kind:     hidden_grid_dims
    .group_segment_fixed_size: 0
    .kernarg_segment_align: 8
    .kernarg_segment_size: 440
    .language:       OpenCL C
    .language_version:
      - 2
      - 0
    .max_flat_workgroup_size: 1024
    .name:           _ZN2at6native12_GLOBAL__N_143conv_depthwise3d_cuda_backward_input_kernelIffLin1ELin1ELin1ELin1ELin1ELin1ELin1ELin1ELin1EEEvN5torch10headeronly6detail27GenericPackedTensorAccessorINS5_14TensorAccessorIN3c108ArrayRefIlEEKT_Lm4ENS4_16DefaultPtrTraitsEiEENS_6detail16IndexBoundsCheckILm5EiEESC_Lm5ESD_iEENS6_INS7_ISA_SB_Lm4ESD_iEESH_SB_Lm5ESD_iEESI_iiiiiiiii
    .private_segment_fixed_size: 0
    .sgpr_count:     70
    .sgpr_spill_count: 0
    .symbol:         _ZN2at6native12_GLOBAL__N_143conv_depthwise3d_cuda_backward_input_kernelIffLin1ELin1ELin1ELin1ELin1ELin1ELin1ELin1ELin1EEEvN5torch10headeronly6detail27GenericPackedTensorAccessorINS5_14TensorAccessorIN3c108ArrayRefIlEEKT_Lm4ENS4_16DefaultPtrTraitsEiEENS_6detail16IndexBoundsCheckILm5EiEESC_Lm5ESD_iEENS6_INS7_ISA_SB_Lm4ESD_iEESH_SB_Lm5ESD_iEESI_iiiiiiiii.kd
    .uniform_work_group_size: 1
    .uses_dynamic_stack: false
    .vgpr_count:     34
    .vgpr_spill_count: 0
    .wavefront_size: 32
    .workgroup_processor_mode: 1
  - .args:
      - .offset:         0
        .size:           48
        .value_kind:     by_value
      - .offset:         48
        .size:           48
        .value_kind:     by_value
      - .offset:         96
        .size:           48
        .value_kind:     by_value
      - .offset:         144
        .size:           4
        .value_kind:     by_value
      - .offset:         148
        .size:           4
        .value_kind:     by_value
      - .offset:         152
        .size:           4
        .value_kind:     by_value
      - .offset:         156
        .size:           4
        .value_kind:     by_value
      - .offset:         160
        .size:           4
        .value_kind:     by_value
      - .offset:         164
        .size:           4
        .value_kind:     by_value
      - .offset:         168
        .size:           4
        .value_kind:     by_value
      - .offset:         172
        .size:           4
        .value_kind:     by_value
      - .offset:         176
        .size:           4
        .value_kind:     by_value
      - .offset:         184
        .size:           4
        .value_kind:     hidden_block_count_x
      - .offset:         188
        .size:           4
        .value_kind:     hidden_block_count_y
      - .offset:         192
        .size:           4
        .value_kind:     hidden_block_count_z
      - .offset:         196
        .size:           2
        .value_kind:     hidden_group_size_x
      - .offset:         198
        .size:           2
        .value_kind:     hidden_group_size_y
      - .offset:         200
        .size:           2
        .value_kind:     hidden_group_size_z
      - .offset:         202
        .size:           2
        .value_kind:     hidden_remainder_x
      - .offset:         204
        .size:           2
        .value_kind:     hidden_remainder_y
      - .offset:         206
        .size:           2
        .value_kind:     hidden_remainder_z
      - .offset:         224
        .size:           8
        .value_kind:     hidden_global_offset_x
      - .offset:         232
        .size:           8
        .value_kind:     hidden_global_offset_y
      - .offset:         240
        .size:           8
        .value_kind:     hidden_global_offset_z
      - .offset:         248
        .size:           2
        .value_kind:     hidden_grid_dims
    .group_segment_fixed_size: 0
    .kernarg_segment_align: 8
    .kernarg_segment_size: 440
    .language:       OpenCL C
    .language_version:
      - 2
      - 0
    .max_flat_workgroup_size: 1024
    .name:           _ZN2at6native12_GLOBAL__N_143conv_depthwise3d_cuda_backward_input_kernelIN3c104HalfEfLi3ELi3ELi3ELi1ELi1ELi1ELi1ELi1ELi1EEEvN5torch10headeronly6detail27GenericPackedTensorAccessorINS7_14TensorAccessorINS3_8ArrayRefIlEEKT_Lm4ENS6_16DefaultPtrTraitsEiEENS_6detail16IndexBoundsCheckILm5EiEESD_Lm5ESE_iEENS8_INS9_ISB_SC_Lm4ESE_iEESI_SC_Lm5ESE_iEESJ_iiiiiiiii
    .private_segment_fixed_size: 0
    .sgpr_count:     72
    .sgpr_spill_count: 0
    .symbol:         _ZN2at6native12_GLOBAL__N_143conv_depthwise3d_cuda_backward_input_kernelIN3c104HalfEfLi3ELi3ELi3ELi1ELi1ELi1ELi1ELi1ELi1EEEvN5torch10headeronly6detail27GenericPackedTensorAccessorINS7_14TensorAccessorINS3_8ArrayRefIlEEKT_Lm4ENS6_16DefaultPtrTraitsEiEENS_6detail16IndexBoundsCheckILm5EiEESD_Lm5ESE_iEENS8_INS9_ISB_SC_Lm4ESE_iEESI_SC_Lm5ESE_iEESJ_iiiiiiiii.kd
    .uniform_work_group_size: 1
    .uses_dynamic_stack: false
    .vgpr_count:     127
    .vgpr_spill_count: 0
    .wavefront_size: 32
    .workgroup_processor_mode: 1
  - .args:
      - .offset:         0
        .size:           48
        .value_kind:     by_value
      - .offset:         48
        .size:           48
        .value_kind:     by_value
      - .offset:         96
        .size:           48
        .value_kind:     by_value
      - .offset:         144
        .size:           4
        .value_kind:     by_value
      - .offset:         148
        .size:           4
        .value_kind:     by_value
      - .offset:         152
        .size:           4
        .value_kind:     by_value
      - .offset:         156
        .size:           4
        .value_kind:     by_value
      - .offset:         160
        .size:           4
        .value_kind:     by_value
      - .offset:         164
        .size:           4
        .value_kind:     by_value
      - .offset:         168
        .size:           4
        .value_kind:     by_value
      - .offset:         172
        .size:           4
        .value_kind:     by_value
      - .offset:         176
        .size:           4
        .value_kind:     by_value
      - .offset:         184
        .size:           4
        .value_kind:     hidden_block_count_x
      - .offset:         188
        .size:           4
        .value_kind:     hidden_block_count_y
      - .offset:         192
        .size:           4
        .value_kind:     hidden_block_count_z
      - .offset:         196
        .size:           2
        .value_kind:     hidden_group_size_x
      - .offset:         198
        .size:           2
        .value_kind:     hidden_group_size_y
      - .offset:         200
        .size:           2
        .value_kind:     hidden_group_size_z
      - .offset:         202
        .size:           2
        .value_kind:     hidden_remainder_x
      - .offset:         204
        .size:           2
        .value_kind:     hidden_remainder_y
      - .offset:         206
        .size:           2
        .value_kind:     hidden_remainder_z
      - .offset:         224
        .size:           8
        .value_kind:     hidden_global_offset_x
      - .offset:         232
        .size:           8
        .value_kind:     hidden_global_offset_y
      - .offset:         240
        .size:           8
        .value_kind:     hidden_global_offset_z
      - .offset:         248
        .size:           2
        .value_kind:     hidden_grid_dims
    .group_segment_fixed_size: 0
    .kernarg_segment_align: 8
    .kernarg_segment_size: 440
    .language:       OpenCL C
    .language_version:
      - 2
      - 0
    .max_flat_workgroup_size: 1024
    .name:           _ZN2at6native12_GLOBAL__N_143conv_depthwise3d_cuda_backward_input_kernelIN3c104HalfEfLi3ELi3ELi3ELi1ELi1ELi1ELin1ELin1ELin1EEEvN5torch10headeronly6detail27GenericPackedTensorAccessorINS7_14TensorAccessorINS3_8ArrayRefIlEEKT_Lm4ENS6_16DefaultPtrTraitsEiEENS_6detail16IndexBoundsCheckILm5EiEESD_Lm5ESE_iEENS8_INS9_ISB_SC_Lm4ESE_iEESI_SC_Lm5ESE_iEESJ_iiiiiiiii
    .private_segment_fixed_size: 0
    .sgpr_count:     107
    .sgpr_spill_count: 5
    .symbol:         _ZN2at6native12_GLOBAL__N_143conv_depthwise3d_cuda_backward_input_kernelIN3c104HalfEfLi3ELi3ELi3ELi1ELi1ELi1ELin1ELin1ELin1EEEvN5torch10headeronly6detail27GenericPackedTensorAccessorINS7_14TensorAccessorINS3_8ArrayRefIlEEKT_Lm4ENS6_16DefaultPtrTraitsEiEENS_6detail16IndexBoundsCheckILm5EiEESD_Lm5ESE_iEENS8_INS9_ISB_SC_Lm4ESE_iEESI_SC_Lm5ESE_iEESJ_iiiiiiiii.kd
    .uniform_work_group_size: 1
    .uses_dynamic_stack: false
    .vgpr_count:     131
    .vgpr_spill_count: 0
    .wavefront_size: 32
    .workgroup_processor_mode: 1
  - .args:
      - .offset:         0
        .size:           48
        .value_kind:     by_value
      - .offset:         48
        .size:           48
        .value_kind:     by_value
      - .offset:         96
        .size:           48
        .value_kind:     by_value
      - .offset:         144
        .size:           4
        .value_kind:     by_value
      - .offset:         148
        .size:           4
        .value_kind:     by_value
      - .offset:         152
        .size:           4
        .value_kind:     by_value
      - .offset:         156
        .size:           4
        .value_kind:     by_value
      - .offset:         160
        .size:           4
        .value_kind:     by_value
      - .offset:         164
        .size:           4
        .value_kind:     by_value
      - .offset:         168
        .size:           4
        .value_kind:     by_value
      - .offset:         172
        .size:           4
        .value_kind:     by_value
      - .offset:         176
        .size:           4
        .value_kind:     by_value
      - .offset:         184
        .size:           4
        .value_kind:     hidden_block_count_x
      - .offset:         188
        .size:           4
        .value_kind:     hidden_block_count_y
      - .offset:         192
        .size:           4
        .value_kind:     hidden_block_count_z
      - .offset:         196
        .size:           2
        .value_kind:     hidden_group_size_x
      - .offset:         198
        .size:           2
        .value_kind:     hidden_group_size_y
      - .offset:         200
        .size:           2
        .value_kind:     hidden_group_size_z
      - .offset:         202
        .size:           2
        .value_kind:     hidden_remainder_x
      - .offset:         204
        .size:           2
        .value_kind:     hidden_remainder_y
      - .offset:         206
        .size:           2
        .value_kind:     hidden_remainder_z
      - .offset:         224
        .size:           8
        .value_kind:     hidden_global_offset_x
      - .offset:         232
        .size:           8
        .value_kind:     hidden_global_offset_y
      - .offset:         240
        .size:           8
        .value_kind:     hidden_global_offset_z
      - .offset:         248
        .size:           2
        .value_kind:     hidden_grid_dims
    .group_segment_fixed_size: 0
    .kernarg_segment_align: 8
    .kernarg_segment_size: 440
    .language:       OpenCL C
    .language_version:
      - 2
      - 0
    .max_flat_workgroup_size: 1024
    .name:           _ZN2at6native12_GLOBAL__N_143conv_depthwise3d_cuda_backward_input_kernelIN3c104HalfEfLi3ELi3ELi3ELin1ELin1ELin1ELi1ELi1ELi1EEEvN5torch10headeronly6detail27GenericPackedTensorAccessorINS7_14TensorAccessorINS3_8ArrayRefIlEEKT_Lm4ENS6_16DefaultPtrTraitsEiEENS_6detail16IndexBoundsCheckILm5EiEESD_Lm5ESE_iEENS8_INS9_ISB_SC_Lm4ESE_iEESI_SC_Lm5ESE_iEESJ_iiiiiiiii
    .private_segment_fixed_size: 0
    .sgpr_count:     78
    .sgpr_spill_count: 0
    .symbol:         _ZN2at6native12_GLOBAL__N_143conv_depthwise3d_cuda_backward_input_kernelIN3c104HalfEfLi3ELi3ELi3ELin1ELin1ELin1ELi1ELi1ELi1EEEvN5torch10headeronly6detail27GenericPackedTensorAccessorINS7_14TensorAccessorINS3_8ArrayRefIlEEKT_Lm4ENS6_16DefaultPtrTraitsEiEENS_6detail16IndexBoundsCheckILm5EiEESD_Lm5ESE_iEENS8_INS9_ISB_SC_Lm4ESE_iEESI_SC_Lm5ESE_iEESJ_iiiiiiiii.kd
    .uniform_work_group_size: 1
    .uses_dynamic_stack: false
    .vgpr_count:     127
    .vgpr_spill_count: 0
    .wavefront_size: 32
    .workgroup_processor_mode: 1
  - .args:
      - .offset:         0
        .size:           48
        .value_kind:     by_value
      - .offset:         48
        .size:           48
        .value_kind:     by_value
      - .offset:         96
        .size:           48
        .value_kind:     by_value
      - .offset:         144
        .size:           4
        .value_kind:     by_value
      - .offset:         148
        .size:           4
        .value_kind:     by_value
      - .offset:         152
        .size:           4
        .value_kind:     by_value
      - .offset:         156
        .size:           4
        .value_kind:     by_value
      - .offset:         160
        .size:           4
        .value_kind:     by_value
      - .offset:         164
        .size:           4
        .value_kind:     by_value
      - .offset:         168
        .size:           4
        .value_kind:     by_value
      - .offset:         172
        .size:           4
        .value_kind:     by_value
      - .offset:         176
        .size:           4
        .value_kind:     by_value
      - .offset:         184
        .size:           4
        .value_kind:     hidden_block_count_x
      - .offset:         188
        .size:           4
        .value_kind:     hidden_block_count_y
      - .offset:         192
        .size:           4
        .value_kind:     hidden_block_count_z
      - .offset:         196
        .size:           2
        .value_kind:     hidden_group_size_x
      - .offset:         198
        .size:           2
        .value_kind:     hidden_group_size_y
      - .offset:         200
        .size:           2
        .value_kind:     hidden_group_size_z
      - .offset:         202
        .size:           2
        .value_kind:     hidden_remainder_x
      - .offset:         204
        .size:           2
        .value_kind:     hidden_remainder_y
      - .offset:         206
        .size:           2
        .value_kind:     hidden_remainder_z
      - .offset:         224
        .size:           8
        .value_kind:     hidden_global_offset_x
      - .offset:         232
        .size:           8
        .value_kind:     hidden_global_offset_y
      - .offset:         240
        .size:           8
        .value_kind:     hidden_global_offset_z
      - .offset:         248
        .size:           2
        .value_kind:     hidden_grid_dims
    .group_segment_fixed_size: 0
    .kernarg_segment_align: 8
    .kernarg_segment_size: 440
    .language:       OpenCL C
    .language_version:
      - 2
      - 0
    .max_flat_workgroup_size: 1024
    .name:           _ZN2at6native12_GLOBAL__N_143conv_depthwise3d_cuda_backward_input_kernelIN3c104HalfEfLi3ELi3ELi3ELin1ELin1ELin1ELin1ELin1ELin1EEEvN5torch10headeronly6detail27GenericPackedTensorAccessorINS7_14TensorAccessorINS3_8ArrayRefIlEEKT_Lm4ENS6_16DefaultPtrTraitsEiEENS_6detail16IndexBoundsCheckILm5EiEESD_Lm5ESE_iEENS8_INS9_ISB_SC_Lm4ESE_iEESI_SC_Lm5ESE_iEESJ_iiiiiiiii
    .private_segment_fixed_size: 0
    .sgpr_count:     107
    .sgpr_spill_count: 13
    .symbol:         _ZN2at6native12_GLOBAL__N_143conv_depthwise3d_cuda_backward_input_kernelIN3c104HalfEfLi3ELi3ELi3ELin1ELin1ELin1ELin1ELin1ELin1EEEvN5torch10headeronly6detail27GenericPackedTensorAccessorINS7_14TensorAccessorINS3_8ArrayRefIlEEKT_Lm4ENS6_16DefaultPtrTraitsEiEENS_6detail16IndexBoundsCheckILm5EiEESD_Lm5ESE_iEENS8_INS9_ISB_SC_Lm4ESE_iEESI_SC_Lm5ESE_iEESJ_iiiiiiiii.kd
    .uniform_work_group_size: 1
    .uses_dynamic_stack: false
    .vgpr_count:     131
    .vgpr_spill_count: 0
    .wavefront_size: 32
    .workgroup_processor_mode: 1
  - .args:
      - .offset:         0
        .size:           48
        .value_kind:     by_value
      - .offset:         48
        .size:           48
        .value_kind:     by_value
      - .offset:         96
        .size:           48
        .value_kind:     by_value
      - .offset:         144
        .size:           4
        .value_kind:     by_value
      - .offset:         148
        .size:           4
        .value_kind:     by_value
      - .offset:         152
        .size:           4
        .value_kind:     by_value
      - .offset:         156
        .size:           4
        .value_kind:     by_value
      - .offset:         160
        .size:           4
        .value_kind:     by_value
      - .offset:         164
        .size:           4
        .value_kind:     by_value
      - .offset:         168
        .size:           4
        .value_kind:     by_value
      - .offset:         172
        .size:           4
        .value_kind:     by_value
      - .offset:         176
        .size:           4
        .value_kind:     by_value
      - .offset:         184
        .size:           4
        .value_kind:     hidden_block_count_x
      - .offset:         188
        .size:           4
        .value_kind:     hidden_block_count_y
      - .offset:         192
        .size:           4
        .value_kind:     hidden_block_count_z
      - .offset:         196
        .size:           2
        .value_kind:     hidden_group_size_x
      - .offset:         198
        .size:           2
        .value_kind:     hidden_group_size_y
      - .offset:         200
        .size:           2
        .value_kind:     hidden_group_size_z
      - .offset:         202
        .size:           2
        .value_kind:     hidden_remainder_x
      - .offset:         204
        .size:           2
        .value_kind:     hidden_remainder_y
      - .offset:         206
        .size:           2
        .value_kind:     hidden_remainder_z
      - .offset:         224
        .size:           8
        .value_kind:     hidden_global_offset_x
      - .offset:         232
        .size:           8
        .value_kind:     hidden_global_offset_y
      - .offset:         240
        .size:           8
        .value_kind:     hidden_global_offset_z
      - .offset:         248
        .size:           2
        .value_kind:     hidden_grid_dims
    .group_segment_fixed_size: 0
    .kernarg_segment_align: 8
    .kernarg_segment_size: 440
    .language:       OpenCL C
    .language_version:
      - 2
      - 0
    .max_flat_workgroup_size: 1024
    .name:           _ZN2at6native12_GLOBAL__N_143conv_depthwise3d_cuda_backward_input_kernelIN3c104HalfEfLin1ELin1ELin1ELin1ELin1ELin1ELin1ELin1ELin1EEEvN5torch10headeronly6detail27GenericPackedTensorAccessorINS7_14TensorAccessorINS3_8ArrayRefIlEEKT_Lm4ENS6_16DefaultPtrTraitsEiEENS_6detail16IndexBoundsCheckILm5EiEESD_Lm5ESE_iEENS8_INS9_ISB_SC_Lm4ESE_iEESI_SC_Lm5ESE_iEESJ_iiiiiiiii
    .private_segment_fixed_size: 0
    .sgpr_count:     70
    .sgpr_spill_count: 0
    .symbol:         _ZN2at6native12_GLOBAL__N_143conv_depthwise3d_cuda_backward_input_kernelIN3c104HalfEfLin1ELin1ELin1ELin1ELin1ELin1ELin1ELin1ELin1EEEvN5torch10headeronly6detail27GenericPackedTensorAccessorINS7_14TensorAccessorINS3_8ArrayRefIlEEKT_Lm4ENS6_16DefaultPtrTraitsEiEENS_6detail16IndexBoundsCheckILm5EiEESD_Lm5ESE_iEENS8_INS9_ISB_SC_Lm4ESE_iEESI_SC_Lm5ESE_iEESJ_iiiiiiiii.kd
    .uniform_work_group_size: 1
    .uses_dynamic_stack: false
    .vgpr_count:     34
    .vgpr_spill_count: 0
    .wavefront_size: 32
    .workgroup_processor_mode: 1
  - .args:
      - .offset:         0
        .size:           48
        .value_kind:     by_value
      - .offset:         48
        .size:           48
        .value_kind:     by_value
      - .offset:         96
        .size:           48
        .value_kind:     by_value
      - .offset:         144
        .size:           4
        .value_kind:     by_value
      - .offset:         148
        .size:           4
        .value_kind:     by_value
      - .offset:         152
        .size:           4
        .value_kind:     by_value
      - .offset:         156
        .size:           4
        .value_kind:     by_value
      - .offset:         160
        .size:           4
        .value_kind:     by_value
      - .offset:         164
        .size:           4
        .value_kind:     by_value
      - .offset:         168
        .size:           4
        .value_kind:     by_value
      - .offset:         172
        .size:           4
        .value_kind:     by_value
      - .offset:         176
        .size:           4
        .value_kind:     by_value
      - .offset:         184
        .size:           4
        .value_kind:     hidden_block_count_x
      - .offset:         188
        .size:           4
        .value_kind:     hidden_block_count_y
      - .offset:         192
        .size:           4
        .value_kind:     hidden_block_count_z
      - .offset:         196
        .size:           2
        .value_kind:     hidden_group_size_x
      - .offset:         198
        .size:           2
        .value_kind:     hidden_group_size_y
      - .offset:         200
        .size:           2
        .value_kind:     hidden_group_size_z
      - .offset:         202
        .size:           2
        .value_kind:     hidden_remainder_x
      - .offset:         204
        .size:           2
        .value_kind:     hidden_remainder_y
      - .offset:         206
        .size:           2
        .value_kind:     hidden_remainder_z
      - .offset:         224
        .size:           8
        .value_kind:     hidden_global_offset_x
      - .offset:         232
        .size:           8
        .value_kind:     hidden_global_offset_y
      - .offset:         240
        .size:           8
        .value_kind:     hidden_global_offset_z
      - .offset:         248
        .size:           2
        .value_kind:     hidden_grid_dims
    .group_segment_fixed_size: 0
    .kernarg_segment_align: 8
    .kernarg_segment_size: 440
    .language:       OpenCL C
    .language_version:
      - 2
      - 0
    .max_flat_workgroup_size: 1024
    .name:           _ZN2at6native12_GLOBAL__N_143conv_depthwise3d_cuda_backward_input_kernelIN3c108BFloat16EfLi3ELi3ELi3ELi1ELi1ELi1ELi1ELi1ELi1EEEvN5torch10headeronly6detail27GenericPackedTensorAccessorINS7_14TensorAccessorINS3_8ArrayRefIlEEKT_Lm4ENS6_16DefaultPtrTraitsEiEENS_6detail16IndexBoundsCheckILm5EiEESD_Lm5ESE_iEENS8_INS9_ISB_SC_Lm4ESE_iEESI_SC_Lm5ESE_iEESJ_iiiiiiiii
    .private_segment_fixed_size: 0
    .sgpr_count:     72
    .sgpr_spill_count: 0
    .symbol:         _ZN2at6native12_GLOBAL__N_143conv_depthwise3d_cuda_backward_input_kernelIN3c108BFloat16EfLi3ELi3ELi3ELi1ELi1ELi1ELi1ELi1ELi1EEEvN5torch10headeronly6detail27GenericPackedTensorAccessorINS7_14TensorAccessorINS3_8ArrayRefIlEEKT_Lm4ENS6_16DefaultPtrTraitsEiEENS_6detail16IndexBoundsCheckILm5EiEESD_Lm5ESE_iEENS8_INS9_ISB_SC_Lm4ESE_iEESI_SC_Lm5ESE_iEESJ_iiiiiiiii.kd
    .uniform_work_group_size: 1
    .uses_dynamic_stack: false
    .vgpr_count:     127
    .vgpr_spill_count: 0
    .wavefront_size: 32
    .workgroup_processor_mode: 1
  - .args:
      - .offset:         0
        .size:           48
        .value_kind:     by_value
      - .offset:         48
        .size:           48
        .value_kind:     by_value
      - .offset:         96
        .size:           48
        .value_kind:     by_value
      - .offset:         144
        .size:           4
        .value_kind:     by_value
      - .offset:         148
        .size:           4
        .value_kind:     by_value
      - .offset:         152
        .size:           4
        .value_kind:     by_value
      - .offset:         156
        .size:           4
        .value_kind:     by_value
      - .offset:         160
        .size:           4
        .value_kind:     by_value
      - .offset:         164
        .size:           4
        .value_kind:     by_value
      - .offset:         168
        .size:           4
        .value_kind:     by_value
      - .offset:         172
        .size:           4
        .value_kind:     by_value
      - .offset:         176
        .size:           4
        .value_kind:     by_value
      - .offset:         184
        .size:           4
        .value_kind:     hidden_block_count_x
      - .offset:         188
        .size:           4
        .value_kind:     hidden_block_count_y
      - .offset:         192
        .size:           4
        .value_kind:     hidden_block_count_z
      - .offset:         196
        .size:           2
        .value_kind:     hidden_group_size_x
      - .offset:         198
        .size:           2
        .value_kind:     hidden_group_size_y
      - .offset:         200
        .size:           2
        .value_kind:     hidden_group_size_z
      - .offset:         202
        .size:           2
        .value_kind:     hidden_remainder_x
      - .offset:         204
        .size:           2
        .value_kind:     hidden_remainder_y
      - .offset:         206
        .size:           2
        .value_kind:     hidden_remainder_z
      - .offset:         224
        .size:           8
        .value_kind:     hidden_global_offset_x
      - .offset:         232
        .size:           8
        .value_kind:     hidden_global_offset_y
      - .offset:         240
        .size:           8
        .value_kind:     hidden_global_offset_z
      - .offset:         248
        .size:           2
        .value_kind:     hidden_grid_dims
    .group_segment_fixed_size: 0
    .kernarg_segment_align: 8
    .kernarg_segment_size: 440
    .language:       OpenCL C
    .language_version:
      - 2
      - 0
    .max_flat_workgroup_size: 1024
    .name:           _ZN2at6native12_GLOBAL__N_143conv_depthwise3d_cuda_backward_input_kernelIN3c108BFloat16EfLi3ELi3ELi3ELi1ELi1ELi1ELin1ELin1ELin1EEEvN5torch10headeronly6detail27GenericPackedTensorAccessorINS7_14TensorAccessorINS3_8ArrayRefIlEEKT_Lm4ENS6_16DefaultPtrTraitsEiEENS_6detail16IndexBoundsCheckILm5EiEESD_Lm5ESE_iEENS8_INS9_ISB_SC_Lm4ESE_iEESI_SC_Lm5ESE_iEESJ_iiiiiiiii
    .private_segment_fixed_size: 0
    .sgpr_count:     107
    .sgpr_spill_count: 5
    .symbol:         _ZN2at6native12_GLOBAL__N_143conv_depthwise3d_cuda_backward_input_kernelIN3c108BFloat16EfLi3ELi3ELi3ELi1ELi1ELi1ELin1ELin1ELin1EEEvN5torch10headeronly6detail27GenericPackedTensorAccessorINS7_14TensorAccessorINS3_8ArrayRefIlEEKT_Lm4ENS6_16DefaultPtrTraitsEiEENS_6detail16IndexBoundsCheckILm5EiEESD_Lm5ESE_iEENS8_INS9_ISB_SC_Lm4ESE_iEESI_SC_Lm5ESE_iEESJ_iiiiiiiii.kd
    .uniform_work_group_size: 1
    .uses_dynamic_stack: false
    .vgpr_count:     131
    .vgpr_spill_count: 0
    .wavefront_size: 32
    .workgroup_processor_mode: 1
  - .args:
      - .offset:         0
        .size:           48
        .value_kind:     by_value
      - .offset:         48
        .size:           48
        .value_kind:     by_value
      - .offset:         96
        .size:           48
        .value_kind:     by_value
      - .offset:         144
        .size:           4
        .value_kind:     by_value
      - .offset:         148
        .size:           4
        .value_kind:     by_value
      - .offset:         152
        .size:           4
        .value_kind:     by_value
      - .offset:         156
        .size:           4
        .value_kind:     by_value
      - .offset:         160
        .size:           4
        .value_kind:     by_value
      - .offset:         164
        .size:           4
        .value_kind:     by_value
      - .offset:         168
        .size:           4
        .value_kind:     by_value
      - .offset:         172
        .size:           4
        .value_kind:     by_value
      - .offset:         176
        .size:           4
        .value_kind:     by_value
      - .offset:         184
        .size:           4
        .value_kind:     hidden_block_count_x
      - .offset:         188
        .size:           4
        .value_kind:     hidden_block_count_y
      - .offset:         192
        .size:           4
        .value_kind:     hidden_block_count_z
      - .offset:         196
        .size:           2
        .value_kind:     hidden_group_size_x
      - .offset:         198
        .size:           2
        .value_kind:     hidden_group_size_y
      - .offset:         200
        .size:           2
        .value_kind:     hidden_group_size_z
      - .offset:         202
        .size:           2
        .value_kind:     hidden_remainder_x
      - .offset:         204
        .size:           2
        .value_kind:     hidden_remainder_y
      - .offset:         206
        .size:           2
        .value_kind:     hidden_remainder_z
      - .offset:         224
        .size:           8
        .value_kind:     hidden_global_offset_x
      - .offset:         232
        .size:           8
        .value_kind:     hidden_global_offset_y
      - .offset:         240
        .size:           8
        .value_kind:     hidden_global_offset_z
      - .offset:         248
        .size:           2
        .value_kind:     hidden_grid_dims
    .group_segment_fixed_size: 0
    .kernarg_segment_align: 8
    .kernarg_segment_size: 440
    .language:       OpenCL C
    .language_version:
      - 2
      - 0
    .max_flat_workgroup_size: 1024
    .name:           _ZN2at6native12_GLOBAL__N_143conv_depthwise3d_cuda_backward_input_kernelIN3c108BFloat16EfLi3ELi3ELi3ELin1ELin1ELin1ELi1ELi1ELi1EEEvN5torch10headeronly6detail27GenericPackedTensorAccessorINS7_14TensorAccessorINS3_8ArrayRefIlEEKT_Lm4ENS6_16DefaultPtrTraitsEiEENS_6detail16IndexBoundsCheckILm5EiEESD_Lm5ESE_iEENS8_INS9_ISB_SC_Lm4ESE_iEESI_SC_Lm5ESE_iEESJ_iiiiiiiii
    .private_segment_fixed_size: 0
    .sgpr_count:     78
    .sgpr_spill_count: 0
    .symbol:         _ZN2at6native12_GLOBAL__N_143conv_depthwise3d_cuda_backward_input_kernelIN3c108BFloat16EfLi3ELi3ELi3ELin1ELin1ELin1ELi1ELi1ELi1EEEvN5torch10headeronly6detail27GenericPackedTensorAccessorINS7_14TensorAccessorINS3_8ArrayRefIlEEKT_Lm4ENS6_16DefaultPtrTraitsEiEENS_6detail16IndexBoundsCheckILm5EiEESD_Lm5ESE_iEENS8_INS9_ISB_SC_Lm4ESE_iEESI_SC_Lm5ESE_iEESJ_iiiiiiiii.kd
    .uniform_work_group_size: 1
    .uses_dynamic_stack: false
    .vgpr_count:     127
    .vgpr_spill_count: 0
    .wavefront_size: 32
    .workgroup_processor_mode: 1
  - .args:
      - .offset:         0
        .size:           48
        .value_kind:     by_value
      - .offset:         48
        .size:           48
        .value_kind:     by_value
      - .offset:         96
        .size:           48
        .value_kind:     by_value
      - .offset:         144
        .size:           4
        .value_kind:     by_value
      - .offset:         148
        .size:           4
        .value_kind:     by_value
      - .offset:         152
        .size:           4
        .value_kind:     by_value
      - .offset:         156
        .size:           4
        .value_kind:     by_value
      - .offset:         160
        .size:           4
        .value_kind:     by_value
      - .offset:         164
        .size:           4
        .value_kind:     by_value
      - .offset:         168
        .size:           4
        .value_kind:     by_value
      - .offset:         172
        .size:           4
        .value_kind:     by_value
      - .offset:         176
        .size:           4
        .value_kind:     by_value
      - .offset:         184
        .size:           4
        .value_kind:     hidden_block_count_x
      - .offset:         188
        .size:           4
        .value_kind:     hidden_block_count_y
      - .offset:         192
        .size:           4
        .value_kind:     hidden_block_count_z
      - .offset:         196
        .size:           2
        .value_kind:     hidden_group_size_x
      - .offset:         198
        .size:           2
        .value_kind:     hidden_group_size_y
      - .offset:         200
        .size:           2
        .value_kind:     hidden_group_size_z
      - .offset:         202
        .size:           2
        .value_kind:     hidden_remainder_x
      - .offset:         204
        .size:           2
        .value_kind:     hidden_remainder_y
      - .offset:         206
        .size:           2
        .value_kind:     hidden_remainder_z
      - .offset:         224
        .size:           8
        .value_kind:     hidden_global_offset_x
      - .offset:         232
        .size:           8
        .value_kind:     hidden_global_offset_y
      - .offset:         240
        .size:           8
        .value_kind:     hidden_global_offset_z
      - .offset:         248
        .size:           2
        .value_kind:     hidden_grid_dims
    .group_segment_fixed_size: 0
    .kernarg_segment_align: 8
    .kernarg_segment_size: 440
    .language:       OpenCL C
    .language_version:
      - 2
      - 0
    .max_flat_workgroup_size: 1024
    .name:           _ZN2at6native12_GLOBAL__N_143conv_depthwise3d_cuda_backward_input_kernelIN3c108BFloat16EfLi3ELi3ELi3ELin1ELin1ELin1ELin1ELin1ELin1EEEvN5torch10headeronly6detail27GenericPackedTensorAccessorINS7_14TensorAccessorINS3_8ArrayRefIlEEKT_Lm4ENS6_16DefaultPtrTraitsEiEENS_6detail16IndexBoundsCheckILm5EiEESD_Lm5ESE_iEENS8_INS9_ISB_SC_Lm4ESE_iEESI_SC_Lm5ESE_iEESJ_iiiiiiiii
    .private_segment_fixed_size: 0
    .sgpr_count:     107
    .sgpr_spill_count: 11
    .symbol:         _ZN2at6native12_GLOBAL__N_143conv_depthwise3d_cuda_backward_input_kernelIN3c108BFloat16EfLi3ELi3ELi3ELin1ELin1ELin1ELin1ELin1ELin1EEEvN5torch10headeronly6detail27GenericPackedTensorAccessorINS7_14TensorAccessorINS3_8ArrayRefIlEEKT_Lm4ENS6_16DefaultPtrTraitsEiEENS_6detail16IndexBoundsCheckILm5EiEESD_Lm5ESE_iEENS8_INS9_ISB_SC_Lm4ESE_iEESI_SC_Lm5ESE_iEESJ_iiiiiiiii.kd
    .uniform_work_group_size: 1
    .uses_dynamic_stack: false
    .vgpr_count:     131
    .vgpr_spill_count: 0
    .wavefront_size: 32
    .workgroup_processor_mode: 1
  - .args:
      - .offset:         0
        .size:           48
        .value_kind:     by_value
      - .offset:         48
        .size:           48
        .value_kind:     by_value
      - .offset:         96
        .size:           48
        .value_kind:     by_value
      - .offset:         144
        .size:           4
        .value_kind:     by_value
      - .offset:         148
        .size:           4
        .value_kind:     by_value
      - .offset:         152
        .size:           4
        .value_kind:     by_value
      - .offset:         156
        .size:           4
        .value_kind:     by_value
      - .offset:         160
        .size:           4
        .value_kind:     by_value
      - .offset:         164
        .size:           4
        .value_kind:     by_value
      - .offset:         168
        .size:           4
        .value_kind:     by_value
      - .offset:         172
        .size:           4
        .value_kind:     by_value
      - .offset:         176
        .size:           4
        .value_kind:     by_value
      - .offset:         184
        .size:           4
        .value_kind:     hidden_block_count_x
      - .offset:         188
        .size:           4
        .value_kind:     hidden_block_count_y
      - .offset:         192
        .size:           4
        .value_kind:     hidden_block_count_z
      - .offset:         196
        .size:           2
        .value_kind:     hidden_group_size_x
      - .offset:         198
        .size:           2
        .value_kind:     hidden_group_size_y
      - .offset:         200
        .size:           2
        .value_kind:     hidden_group_size_z
      - .offset:         202
        .size:           2
        .value_kind:     hidden_remainder_x
      - .offset:         204
        .size:           2
        .value_kind:     hidden_remainder_y
      - .offset:         206
        .size:           2
        .value_kind:     hidden_remainder_z
      - .offset:         224
        .size:           8
        .value_kind:     hidden_global_offset_x
      - .offset:         232
        .size:           8
        .value_kind:     hidden_global_offset_y
      - .offset:         240
        .size:           8
        .value_kind:     hidden_global_offset_z
      - .offset:         248
        .size:           2
        .value_kind:     hidden_grid_dims
    .group_segment_fixed_size: 0
    .kernarg_segment_align: 8
    .kernarg_segment_size: 440
    .language:       OpenCL C
    .language_version:
      - 2
      - 0
    .max_flat_workgroup_size: 1024
    .name:           _ZN2at6native12_GLOBAL__N_143conv_depthwise3d_cuda_backward_input_kernelIN3c108BFloat16EfLin1ELin1ELin1ELin1ELin1ELin1ELin1ELin1ELin1EEEvN5torch10headeronly6detail27GenericPackedTensorAccessorINS7_14TensorAccessorINS3_8ArrayRefIlEEKT_Lm4ENS6_16DefaultPtrTraitsEiEENS_6detail16IndexBoundsCheckILm5EiEESD_Lm5ESE_iEENS8_INS9_ISB_SC_Lm4ESE_iEESI_SC_Lm5ESE_iEESJ_iiiiiiiii
    .private_segment_fixed_size: 0
    .sgpr_count:     70
    .sgpr_spill_count: 0
    .symbol:         _ZN2at6native12_GLOBAL__N_143conv_depthwise3d_cuda_backward_input_kernelIN3c108BFloat16EfLin1ELin1ELin1ELin1ELin1ELin1ELin1ELin1ELin1EEEvN5torch10headeronly6detail27GenericPackedTensorAccessorINS7_14TensorAccessorINS3_8ArrayRefIlEEKT_Lm4ENS6_16DefaultPtrTraitsEiEENS_6detail16IndexBoundsCheckILm5EiEESD_Lm5ESE_iEENS8_INS9_ISB_SC_Lm4ESE_iEESI_SC_Lm5ESE_iEESJ_iiiiiiiii.kd
    .uniform_work_group_size: 1
    .uses_dynamic_stack: false
    .vgpr_count:     34
    .vgpr_spill_count: 0
    .wavefront_size: 32
    .workgroup_processor_mode: 1
  - .args:
      - .offset:         0
        .size:           48
        .value_kind:     by_value
      - .offset:         48
        .size:           48
        .value_kind:     by_value
      - .offset:         96
        .size:           48
        .value_kind:     by_value
      - .offset:         144
        .size:           4
        .value_kind:     by_value
      - .offset:         148
        .size:           4
        .value_kind:     by_value
      - .offset:         152
        .size:           4
        .value_kind:     by_value
      - .offset:         156
        .size:           4
        .value_kind:     by_value
      - .offset:         160
        .size:           4
        .value_kind:     by_value
      - .offset:         164
        .size:           4
        .value_kind:     by_value
      - .offset:         168
        .size:           4
        .value_kind:     by_value
      - .offset:         172
        .size:           4
        .value_kind:     by_value
      - .offset:         176
        .size:           4
        .value_kind:     by_value
      - .offset:         184
        .size:           4
        .value_kind:     hidden_block_count_x
      - .offset:         188
        .size:           4
        .value_kind:     hidden_block_count_y
      - .offset:         192
        .size:           4
        .value_kind:     hidden_block_count_z
      - .offset:         196
        .size:           2
        .value_kind:     hidden_group_size_x
      - .offset:         198
        .size:           2
        .value_kind:     hidden_group_size_y
      - .offset:         200
        .size:           2
        .value_kind:     hidden_group_size_z
      - .offset:         202
        .size:           2
        .value_kind:     hidden_remainder_x
      - .offset:         204
        .size:           2
        .value_kind:     hidden_remainder_y
      - .offset:         206
        .size:           2
        .value_kind:     hidden_remainder_z
      - .offset:         224
        .size:           8
        .value_kind:     hidden_global_offset_x
      - .offset:         232
        .size:           8
        .value_kind:     hidden_global_offset_y
      - .offset:         240
        .size:           8
        .value_kind:     hidden_global_offset_z
      - .offset:         248
        .size:           2
        .value_kind:     hidden_grid_dims
      - .offset:         304
        .size:           4
        .value_kind:     hidden_dynamic_lds_size
    .group_segment_fixed_size: 0
    .kernarg_segment_align: 8
    .kernarg_segment_size: 440
    .language:       OpenCL C
    .language_version:
      - 2
      - 0
    .max_flat_workgroup_size: 1024
    .name:           _ZN2at6native12_GLOBAL__N_144conv_depthwise3d_cuda_backward_weight_kernelIddLi1ELi1EEEvN5torch10headeronly6detail27GenericPackedTensorAccessorINS5_14TensorAccessorIN3c108ArrayRefIlEEKT_Lm4ENS4_16DefaultPtrTraitsEiEENS_6detail16IndexBoundsCheckILm5EiEESC_Lm5ESD_iEESI_NS6_INS7_ISA_SB_Lm4ESD_iEESH_SB_Lm5ESD_iEEiiiiiiiii
    .private_segment_fixed_size: 0
    .sgpr_count:     49
    .sgpr_spill_count: 0
    .symbol:         _ZN2at6native12_GLOBAL__N_144conv_depthwise3d_cuda_backward_weight_kernelIddLi1ELi1EEEvN5torch10headeronly6detail27GenericPackedTensorAccessorINS5_14TensorAccessorIN3c108ArrayRefIlEEKT_Lm4ENS4_16DefaultPtrTraitsEiEENS_6detail16IndexBoundsCheckILm5EiEESC_Lm5ESD_iEESI_NS6_INS7_ISA_SB_Lm4ESD_iEESH_SB_Lm5ESD_iEEiiiiiiiii.kd
    .uniform_work_group_size: 1
    .uses_dynamic_stack: false
    .vgpr_count:     22
    .vgpr_spill_count: 0
    .wavefront_size: 32
    .workgroup_processor_mode: 1
  - .args:
      - .offset:         0
        .size:           48
        .value_kind:     by_value
      - .offset:         48
        .size:           48
        .value_kind:     by_value
      - .offset:         96
        .size:           48
        .value_kind:     by_value
      - .offset:         144
        .size:           4
        .value_kind:     by_value
      - .offset:         148
        .size:           4
        .value_kind:     by_value
      - .offset:         152
        .size:           4
        .value_kind:     by_value
      - .offset:         156
        .size:           4
        .value_kind:     by_value
      - .offset:         160
        .size:           4
        .value_kind:     by_value
      - .offset:         164
        .size:           4
        .value_kind:     by_value
      - .offset:         168
        .size:           4
        .value_kind:     by_value
      - .offset:         172
        .size:           4
        .value_kind:     by_value
      - .offset:         176
        .size:           4
        .value_kind:     by_value
      - .offset:         184
        .size:           4
        .value_kind:     hidden_block_count_x
      - .offset:         188
        .size:           4
        .value_kind:     hidden_block_count_y
      - .offset:         192
        .size:           4
        .value_kind:     hidden_block_count_z
      - .offset:         196
        .size:           2
        .value_kind:     hidden_group_size_x
      - .offset:         198
        .size:           2
        .value_kind:     hidden_group_size_y
      - .offset:         200
        .size:           2
        .value_kind:     hidden_group_size_z
      - .offset:         202
        .size:           2
        .value_kind:     hidden_remainder_x
      - .offset:         204
        .size:           2
        .value_kind:     hidden_remainder_y
      - .offset:         206
        .size:           2
        .value_kind:     hidden_remainder_z
      - .offset:         224
        .size:           8
        .value_kind:     hidden_global_offset_x
      - .offset:         232
        .size:           8
        .value_kind:     hidden_global_offset_y
      - .offset:         240
        .size:           8
        .value_kind:     hidden_global_offset_z
      - .offset:         248
        .size:           2
        .value_kind:     hidden_grid_dims
      - .offset:         304
        .size:           4
        .value_kind:     hidden_dynamic_lds_size
    .group_segment_fixed_size: 0
    .kernarg_segment_align: 8
    .kernarg_segment_size: 440
    .language:       OpenCL C
    .language_version:
      - 2
      - 0
    .max_flat_workgroup_size: 1024
    .name:           _ZN2at6native12_GLOBAL__N_144conv_depthwise3d_cuda_backward_weight_kernelIddLi2ELi2EEEvN5torch10headeronly6detail27GenericPackedTensorAccessorINS5_14TensorAccessorIN3c108ArrayRefIlEEKT_Lm4ENS4_16DefaultPtrTraitsEiEENS_6detail16IndexBoundsCheckILm5EiEESC_Lm5ESD_iEESI_NS6_INS7_ISA_SB_Lm4ESD_iEESH_SB_Lm5ESD_iEEiiiiiiiii
    .private_segment_fixed_size: 0
    .sgpr_count:     49
    .sgpr_spill_count: 0
    .symbol:         _ZN2at6native12_GLOBAL__N_144conv_depthwise3d_cuda_backward_weight_kernelIddLi2ELi2EEEvN5torch10headeronly6detail27GenericPackedTensorAccessorINS5_14TensorAccessorIN3c108ArrayRefIlEEKT_Lm4ENS4_16DefaultPtrTraitsEiEENS_6detail16IndexBoundsCheckILm5EiEESC_Lm5ESD_iEESI_NS6_INS7_ISA_SB_Lm4ESD_iEESH_SB_Lm5ESD_iEEiiiiiiiii.kd
    .uniform_work_group_size: 1
    .uses_dynamic_stack: false
    .vgpr_count:     22
    .vgpr_spill_count: 0
    .wavefront_size: 32
    .workgroup_processor_mode: 1
  - .args:
      - .offset:         0
        .size:           48
        .value_kind:     by_value
      - .offset:         48
        .size:           48
        .value_kind:     by_value
      - .offset:         96
        .size:           48
        .value_kind:     by_value
      - .offset:         144
        .size:           4
        .value_kind:     by_value
      - .offset:         148
        .size:           4
        .value_kind:     by_value
      - .offset:         152
        .size:           4
        .value_kind:     by_value
      - .offset:         156
        .size:           4
        .value_kind:     by_value
      - .offset:         160
        .size:           4
        .value_kind:     by_value
      - .offset:         164
        .size:           4
        .value_kind:     by_value
      - .offset:         168
        .size:           4
        .value_kind:     by_value
      - .offset:         172
        .size:           4
        .value_kind:     by_value
      - .offset:         176
        .size:           4
        .value_kind:     by_value
      - .offset:         184
        .size:           4
        .value_kind:     hidden_block_count_x
      - .offset:         188
        .size:           4
        .value_kind:     hidden_block_count_y
      - .offset:         192
        .size:           4
        .value_kind:     hidden_block_count_z
      - .offset:         196
        .size:           2
        .value_kind:     hidden_group_size_x
      - .offset:         198
        .size:           2
        .value_kind:     hidden_group_size_y
      - .offset:         200
        .size:           2
        .value_kind:     hidden_group_size_z
      - .offset:         202
        .size:           2
        .value_kind:     hidden_remainder_x
      - .offset:         204
        .size:           2
        .value_kind:     hidden_remainder_y
      - .offset:         206
        .size:           2
        .value_kind:     hidden_remainder_z
      - .offset:         224
        .size:           8
        .value_kind:     hidden_global_offset_x
      - .offset:         232
        .size:           8
        .value_kind:     hidden_global_offset_y
      - .offset:         240
        .size:           8
        .value_kind:     hidden_global_offset_z
      - .offset:         248
        .size:           2
        .value_kind:     hidden_grid_dims
      - .offset:         304
        .size:           4
        .value_kind:     hidden_dynamic_lds_size
    .group_segment_fixed_size: 0
    .kernarg_segment_align: 8
    .kernarg_segment_size: 440
    .language:       OpenCL C
    .language_version:
      - 2
      - 0
    .max_flat_workgroup_size: 1024
    .name:           _ZN2at6native12_GLOBAL__N_144conv_depthwise3d_cuda_backward_weight_kernelIddLin1ELin1EEEvN5torch10headeronly6detail27GenericPackedTensorAccessorINS5_14TensorAccessorIN3c108ArrayRefIlEEKT_Lm4ENS4_16DefaultPtrTraitsEiEENS_6detail16IndexBoundsCheckILm5EiEESC_Lm5ESD_iEESI_NS6_INS7_ISA_SB_Lm4ESD_iEESH_SB_Lm5ESD_iEEiiiiiiiii
    .private_segment_fixed_size: 0
    .sgpr_count:     50
    .sgpr_spill_count: 0
    .symbol:         _ZN2at6native12_GLOBAL__N_144conv_depthwise3d_cuda_backward_weight_kernelIddLin1ELin1EEEvN5torch10headeronly6detail27GenericPackedTensorAccessorINS5_14TensorAccessorIN3c108ArrayRefIlEEKT_Lm4ENS4_16DefaultPtrTraitsEiEENS_6detail16IndexBoundsCheckILm5EiEESC_Lm5ESD_iEESI_NS6_INS7_ISA_SB_Lm4ESD_iEESH_SB_Lm5ESD_iEEiiiiiiiii.kd
    .uniform_work_group_size: 1
    .uses_dynamic_stack: false
    .vgpr_count:     23
    .vgpr_spill_count: 0
    .wavefront_size: 32
    .workgroup_processor_mode: 1
  - .args:
      - .offset:         0
        .size:           48
        .value_kind:     by_value
      - .offset:         48
        .size:           48
        .value_kind:     by_value
      - .offset:         96
        .size:           48
        .value_kind:     by_value
      - .offset:         144
        .size:           4
        .value_kind:     by_value
      - .offset:         148
        .size:           4
        .value_kind:     by_value
      - .offset:         152
        .size:           4
        .value_kind:     by_value
      - .offset:         156
        .size:           4
        .value_kind:     by_value
      - .offset:         160
        .size:           4
        .value_kind:     by_value
      - .offset:         164
        .size:           4
        .value_kind:     by_value
      - .offset:         168
        .size:           4
        .value_kind:     by_value
      - .offset:         172
        .size:           4
        .value_kind:     by_value
      - .offset:         176
        .size:           4
        .value_kind:     by_value
      - .offset:         184
        .size:           4
        .value_kind:     hidden_block_count_x
      - .offset:         188
        .size:           4
        .value_kind:     hidden_block_count_y
      - .offset:         192
        .size:           4
        .value_kind:     hidden_block_count_z
      - .offset:         196
        .size:           2
        .value_kind:     hidden_group_size_x
      - .offset:         198
        .size:           2
        .value_kind:     hidden_group_size_y
      - .offset:         200
        .size:           2
        .value_kind:     hidden_group_size_z
      - .offset:         202
        .size:           2
        .value_kind:     hidden_remainder_x
      - .offset:         204
        .size:           2
        .value_kind:     hidden_remainder_y
      - .offset:         206
        .size:           2
        .value_kind:     hidden_remainder_z
      - .offset:         224
        .size:           8
        .value_kind:     hidden_global_offset_x
      - .offset:         232
        .size:           8
        .value_kind:     hidden_global_offset_y
      - .offset:         240
        .size:           8
        .value_kind:     hidden_global_offset_z
      - .offset:         248
        .size:           2
        .value_kind:     hidden_grid_dims
      - .offset:         304
        .size:           4
        .value_kind:     hidden_dynamic_lds_size
    .group_segment_fixed_size: 0
    .kernarg_segment_align: 8
    .kernarg_segment_size: 440
    .language:       OpenCL C
    .language_version:
      - 2
      - 0
    .max_flat_workgroup_size: 1024
    .name:           _ZN2at6native12_GLOBAL__N_144conv_depthwise3d_cuda_backward_weight_kernelIffLi1ELi1EEEvN5torch10headeronly6detail27GenericPackedTensorAccessorINS5_14TensorAccessorIN3c108ArrayRefIlEEKT_Lm4ENS4_16DefaultPtrTraitsEiEENS_6detail16IndexBoundsCheckILm5EiEESC_Lm5ESD_iEESI_NS6_INS7_ISA_SB_Lm4ESD_iEESH_SB_Lm5ESD_iEEiiiiiiiii
    .private_segment_fixed_size: 0
    .sgpr_count:     49
    .sgpr_spill_count: 0
    .symbol:         _ZN2at6native12_GLOBAL__N_144conv_depthwise3d_cuda_backward_weight_kernelIffLi1ELi1EEEvN5torch10headeronly6detail27GenericPackedTensorAccessorINS5_14TensorAccessorIN3c108ArrayRefIlEEKT_Lm4ENS4_16DefaultPtrTraitsEiEENS_6detail16IndexBoundsCheckILm5EiEESC_Lm5ESD_iEESI_NS6_INS7_ISA_SB_Lm4ESD_iEESH_SB_Lm5ESD_iEEiiiiiiiii.kd
    .uniform_work_group_size: 1
    .uses_dynamic_stack: false
    .vgpr_count:     21
    .vgpr_spill_count: 0
    .wavefront_size: 32
    .workgroup_processor_mode: 1
  - .args:
      - .offset:         0
        .size:           48
        .value_kind:     by_value
      - .offset:         48
        .size:           48
        .value_kind:     by_value
      - .offset:         96
        .size:           48
        .value_kind:     by_value
      - .offset:         144
        .size:           4
        .value_kind:     by_value
      - .offset:         148
        .size:           4
        .value_kind:     by_value
      - .offset:         152
        .size:           4
        .value_kind:     by_value
      - .offset:         156
        .size:           4
        .value_kind:     by_value
      - .offset:         160
        .size:           4
        .value_kind:     by_value
      - .offset:         164
        .size:           4
        .value_kind:     by_value
      - .offset:         168
        .size:           4
        .value_kind:     by_value
      - .offset:         172
        .size:           4
        .value_kind:     by_value
      - .offset:         176
        .size:           4
        .value_kind:     by_value
      - .offset:         184
        .size:           4
        .value_kind:     hidden_block_count_x
      - .offset:         188
        .size:           4
        .value_kind:     hidden_block_count_y
      - .offset:         192
        .size:           4
        .value_kind:     hidden_block_count_z
      - .offset:         196
        .size:           2
        .value_kind:     hidden_group_size_x
      - .offset:         198
        .size:           2
        .value_kind:     hidden_group_size_y
      - .offset:         200
        .size:           2
        .value_kind:     hidden_group_size_z
      - .offset:         202
        .size:           2
        .value_kind:     hidden_remainder_x
      - .offset:         204
        .size:           2
        .value_kind:     hidden_remainder_y
      - .offset:         206
        .size:           2
        .value_kind:     hidden_remainder_z
      - .offset:         224
        .size:           8
        .value_kind:     hidden_global_offset_x
      - .offset:         232
        .size:           8
        .value_kind:     hidden_global_offset_y
      - .offset:         240
        .size:           8
        .value_kind:     hidden_global_offset_z
      - .offset:         248
        .size:           2
        .value_kind:     hidden_grid_dims
      - .offset:         304
        .size:           4
        .value_kind:     hidden_dynamic_lds_size
    .group_segment_fixed_size: 0
    .kernarg_segment_align: 8
    .kernarg_segment_size: 440
    .language:       OpenCL C
    .language_version:
      - 2
      - 0
    .max_flat_workgroup_size: 1024
    .name:           _ZN2at6native12_GLOBAL__N_144conv_depthwise3d_cuda_backward_weight_kernelIffLi2ELi2EEEvN5torch10headeronly6detail27GenericPackedTensorAccessorINS5_14TensorAccessorIN3c108ArrayRefIlEEKT_Lm4ENS4_16DefaultPtrTraitsEiEENS_6detail16IndexBoundsCheckILm5EiEESC_Lm5ESD_iEESI_NS6_INS7_ISA_SB_Lm4ESD_iEESH_SB_Lm5ESD_iEEiiiiiiiii
    .private_segment_fixed_size: 0
    .sgpr_count:     49
    .sgpr_spill_count: 0
    .symbol:         _ZN2at6native12_GLOBAL__N_144conv_depthwise3d_cuda_backward_weight_kernelIffLi2ELi2EEEvN5torch10headeronly6detail27GenericPackedTensorAccessorINS5_14TensorAccessorIN3c108ArrayRefIlEEKT_Lm4ENS4_16DefaultPtrTraitsEiEENS_6detail16IndexBoundsCheckILm5EiEESC_Lm5ESD_iEESI_NS6_INS7_ISA_SB_Lm4ESD_iEESH_SB_Lm5ESD_iEEiiiiiiiii.kd
    .uniform_work_group_size: 1
    .uses_dynamic_stack: false
    .vgpr_count:     21
    .vgpr_spill_count: 0
    .wavefront_size: 32
    .workgroup_processor_mode: 1
  - .args:
      - .offset:         0
        .size:           48
        .value_kind:     by_value
      - .offset:         48
        .size:           48
        .value_kind:     by_value
      - .offset:         96
        .size:           48
        .value_kind:     by_value
      - .offset:         144
        .size:           4
        .value_kind:     by_value
      - .offset:         148
        .size:           4
        .value_kind:     by_value
      - .offset:         152
        .size:           4
        .value_kind:     by_value
      - .offset:         156
        .size:           4
        .value_kind:     by_value
      - .offset:         160
        .size:           4
        .value_kind:     by_value
      - .offset:         164
        .size:           4
        .value_kind:     by_value
      - .offset:         168
        .size:           4
        .value_kind:     by_value
      - .offset:         172
        .size:           4
        .value_kind:     by_value
      - .offset:         176
        .size:           4
        .value_kind:     by_value
      - .offset:         184
        .size:           4
        .value_kind:     hidden_block_count_x
      - .offset:         188
        .size:           4
        .value_kind:     hidden_block_count_y
      - .offset:         192
        .size:           4
        .value_kind:     hidden_block_count_z
      - .offset:         196
        .size:           2
        .value_kind:     hidden_group_size_x
      - .offset:         198
        .size:           2
        .value_kind:     hidden_group_size_y
      - .offset:         200
        .size:           2
        .value_kind:     hidden_group_size_z
      - .offset:         202
        .size:           2
        .value_kind:     hidden_remainder_x
      - .offset:         204
        .size:           2
        .value_kind:     hidden_remainder_y
      - .offset:         206
        .size:           2
        .value_kind:     hidden_remainder_z
      - .offset:         224
        .size:           8
        .value_kind:     hidden_global_offset_x
      - .offset:         232
        .size:           8
        .value_kind:     hidden_global_offset_y
      - .offset:         240
        .size:           8
        .value_kind:     hidden_global_offset_z
      - .offset:         248
        .size:           2
        .value_kind:     hidden_grid_dims
      - .offset:         304
        .size:           4
        .value_kind:     hidden_dynamic_lds_size
    .group_segment_fixed_size: 0
    .kernarg_segment_align: 8
    .kernarg_segment_size: 440
    .language:       OpenCL C
    .language_version:
      - 2
      - 0
    .max_flat_workgroup_size: 1024
    .name:           _ZN2at6native12_GLOBAL__N_144conv_depthwise3d_cuda_backward_weight_kernelIffLin1ELin1EEEvN5torch10headeronly6detail27GenericPackedTensorAccessorINS5_14TensorAccessorIN3c108ArrayRefIlEEKT_Lm4ENS4_16DefaultPtrTraitsEiEENS_6detail16IndexBoundsCheckILm5EiEESC_Lm5ESD_iEESI_NS6_INS7_ISA_SB_Lm4ESD_iEESH_SB_Lm5ESD_iEEiiiiiiiii
    .private_segment_fixed_size: 0
    .sgpr_count:     50
    .sgpr_spill_count: 0
    .symbol:         _ZN2at6native12_GLOBAL__N_144conv_depthwise3d_cuda_backward_weight_kernelIffLin1ELin1EEEvN5torch10headeronly6detail27GenericPackedTensorAccessorINS5_14TensorAccessorIN3c108ArrayRefIlEEKT_Lm4ENS4_16DefaultPtrTraitsEiEENS_6detail16IndexBoundsCheckILm5EiEESC_Lm5ESD_iEESI_NS6_INS7_ISA_SB_Lm4ESD_iEESH_SB_Lm5ESD_iEEiiiiiiiii.kd
    .uniform_work_group_size: 1
    .uses_dynamic_stack: false
    .vgpr_count:     21
    .vgpr_spill_count: 0
    .wavefront_size: 32
    .workgroup_processor_mode: 1
  - .args:
      - .offset:         0
        .size:           48
        .value_kind:     by_value
      - .offset:         48
        .size:           48
        .value_kind:     by_value
      - .offset:         96
        .size:           48
        .value_kind:     by_value
      - .offset:         144
        .size:           4
        .value_kind:     by_value
      - .offset:         148
        .size:           4
        .value_kind:     by_value
      - .offset:         152
        .size:           4
        .value_kind:     by_value
      - .offset:         156
        .size:           4
        .value_kind:     by_value
      - .offset:         160
        .size:           4
        .value_kind:     by_value
      - .offset:         164
        .size:           4
        .value_kind:     by_value
      - .offset:         168
        .size:           4
        .value_kind:     by_value
      - .offset:         172
        .size:           4
        .value_kind:     by_value
      - .offset:         176
        .size:           4
        .value_kind:     by_value
      - .offset:         184
        .size:           4
        .value_kind:     hidden_block_count_x
      - .offset:         188
        .size:           4
        .value_kind:     hidden_block_count_y
      - .offset:         192
        .size:           4
        .value_kind:     hidden_block_count_z
      - .offset:         196
        .size:           2
        .value_kind:     hidden_group_size_x
      - .offset:         198
        .size:           2
        .value_kind:     hidden_group_size_y
      - .offset:         200
        .size:           2
        .value_kind:     hidden_group_size_z
      - .offset:         202
        .size:           2
        .value_kind:     hidden_remainder_x
      - .offset:         204
        .size:           2
        .value_kind:     hidden_remainder_y
      - .offset:         206
        .size:           2
        .value_kind:     hidden_remainder_z
      - .offset:         224
        .size:           8
        .value_kind:     hidden_global_offset_x
      - .offset:         232
        .size:           8
        .value_kind:     hidden_global_offset_y
      - .offset:         240
        .size:           8
        .value_kind:     hidden_global_offset_z
      - .offset:         248
        .size:           2
        .value_kind:     hidden_grid_dims
      - .offset:         304
        .size:           4
        .value_kind:     hidden_dynamic_lds_size
    .group_segment_fixed_size: 0
    .kernarg_segment_align: 8
    .kernarg_segment_size: 440
    .language:       OpenCL C
    .language_version:
      - 2
      - 0
    .max_flat_workgroup_size: 1024
    .name:           _ZN2at6native12_GLOBAL__N_144conv_depthwise3d_cuda_backward_weight_kernelIN3c104HalfEfLi1ELi1EEEvN5torch10headeronly6detail27GenericPackedTensorAccessorINS7_14TensorAccessorINS3_8ArrayRefIlEEKT_Lm4ENS6_16DefaultPtrTraitsEiEENS_6detail16IndexBoundsCheckILm5EiEESD_Lm5ESE_iEESJ_NS8_INS9_ISB_SC_Lm4ESE_iEESI_SC_Lm5ESE_iEEiiiiiiiii
    .private_segment_fixed_size: 0
    .sgpr_count:     49
    .sgpr_spill_count: 0
    .symbol:         _ZN2at6native12_GLOBAL__N_144conv_depthwise3d_cuda_backward_weight_kernelIN3c104HalfEfLi1ELi1EEEvN5torch10headeronly6detail27GenericPackedTensorAccessorINS7_14TensorAccessorINS3_8ArrayRefIlEEKT_Lm4ENS6_16DefaultPtrTraitsEiEENS_6detail16IndexBoundsCheckILm5EiEESD_Lm5ESE_iEESJ_NS8_INS9_ISB_SC_Lm4ESE_iEESI_SC_Lm5ESE_iEEiiiiiiiii.kd
    .uniform_work_group_size: 1
    .uses_dynamic_stack: false
    .vgpr_count:     21
    .vgpr_spill_count: 0
    .wavefront_size: 32
    .workgroup_processor_mode: 1
  - .args:
      - .offset:         0
        .size:           48
        .value_kind:     by_value
      - .offset:         48
        .size:           48
        .value_kind:     by_value
      - .offset:         96
        .size:           48
        .value_kind:     by_value
      - .offset:         144
        .size:           4
        .value_kind:     by_value
      - .offset:         148
        .size:           4
        .value_kind:     by_value
      - .offset:         152
        .size:           4
        .value_kind:     by_value
      - .offset:         156
        .size:           4
        .value_kind:     by_value
      - .offset:         160
        .size:           4
        .value_kind:     by_value
      - .offset:         164
        .size:           4
        .value_kind:     by_value
      - .offset:         168
        .size:           4
        .value_kind:     by_value
      - .offset:         172
        .size:           4
        .value_kind:     by_value
      - .offset:         176
        .size:           4
        .value_kind:     by_value
      - .offset:         184
        .size:           4
        .value_kind:     hidden_block_count_x
      - .offset:         188
        .size:           4
        .value_kind:     hidden_block_count_y
      - .offset:         192
        .size:           4
        .value_kind:     hidden_block_count_z
      - .offset:         196
        .size:           2
        .value_kind:     hidden_group_size_x
      - .offset:         198
        .size:           2
        .value_kind:     hidden_group_size_y
      - .offset:         200
        .size:           2
        .value_kind:     hidden_group_size_z
      - .offset:         202
        .size:           2
        .value_kind:     hidden_remainder_x
      - .offset:         204
        .size:           2
        .value_kind:     hidden_remainder_y
      - .offset:         206
        .size:           2
        .value_kind:     hidden_remainder_z
      - .offset:         224
        .size:           8
        .value_kind:     hidden_global_offset_x
      - .offset:         232
        .size:           8
        .value_kind:     hidden_global_offset_y
      - .offset:         240
        .size:           8
        .value_kind:     hidden_global_offset_z
      - .offset:         248
        .size:           2
        .value_kind:     hidden_grid_dims
      - .offset:         304
        .size:           4
        .value_kind:     hidden_dynamic_lds_size
    .group_segment_fixed_size: 0
    .kernarg_segment_align: 8
    .kernarg_segment_size: 440
    .language:       OpenCL C
    .language_version:
      - 2
      - 0
    .max_flat_workgroup_size: 1024
    .name:           _ZN2at6native12_GLOBAL__N_144conv_depthwise3d_cuda_backward_weight_kernelIN3c104HalfEfLi2ELi2EEEvN5torch10headeronly6detail27GenericPackedTensorAccessorINS7_14TensorAccessorINS3_8ArrayRefIlEEKT_Lm4ENS6_16DefaultPtrTraitsEiEENS_6detail16IndexBoundsCheckILm5EiEESD_Lm5ESE_iEESJ_NS8_INS9_ISB_SC_Lm4ESE_iEESI_SC_Lm5ESE_iEEiiiiiiiii
    .private_segment_fixed_size: 0
    .sgpr_count:     49
    .sgpr_spill_count: 0
    .symbol:         _ZN2at6native12_GLOBAL__N_144conv_depthwise3d_cuda_backward_weight_kernelIN3c104HalfEfLi2ELi2EEEvN5torch10headeronly6detail27GenericPackedTensorAccessorINS7_14TensorAccessorINS3_8ArrayRefIlEEKT_Lm4ENS6_16DefaultPtrTraitsEiEENS_6detail16IndexBoundsCheckILm5EiEESD_Lm5ESE_iEESJ_NS8_INS9_ISB_SC_Lm4ESE_iEESI_SC_Lm5ESE_iEEiiiiiiiii.kd
    .uniform_work_group_size: 1
    .uses_dynamic_stack: false
    .vgpr_count:     21
    .vgpr_spill_count: 0
    .wavefront_size: 32
    .workgroup_processor_mode: 1
  - .args:
      - .offset:         0
        .size:           48
        .value_kind:     by_value
      - .offset:         48
        .size:           48
        .value_kind:     by_value
      - .offset:         96
        .size:           48
        .value_kind:     by_value
      - .offset:         144
        .size:           4
        .value_kind:     by_value
      - .offset:         148
        .size:           4
        .value_kind:     by_value
      - .offset:         152
        .size:           4
        .value_kind:     by_value
      - .offset:         156
        .size:           4
        .value_kind:     by_value
      - .offset:         160
        .size:           4
        .value_kind:     by_value
      - .offset:         164
        .size:           4
        .value_kind:     by_value
      - .offset:         168
        .size:           4
        .value_kind:     by_value
      - .offset:         172
        .size:           4
        .value_kind:     by_value
      - .offset:         176
        .size:           4
        .value_kind:     by_value
      - .offset:         184
        .size:           4
        .value_kind:     hidden_block_count_x
      - .offset:         188
        .size:           4
        .value_kind:     hidden_block_count_y
      - .offset:         192
        .size:           4
        .value_kind:     hidden_block_count_z
      - .offset:         196
        .size:           2
        .value_kind:     hidden_group_size_x
      - .offset:         198
        .size:           2
        .value_kind:     hidden_group_size_y
      - .offset:         200
        .size:           2
        .value_kind:     hidden_group_size_z
      - .offset:         202
        .size:           2
        .value_kind:     hidden_remainder_x
      - .offset:         204
        .size:           2
        .value_kind:     hidden_remainder_y
      - .offset:         206
        .size:           2
        .value_kind:     hidden_remainder_z
      - .offset:         224
        .size:           8
        .value_kind:     hidden_global_offset_x
      - .offset:         232
        .size:           8
        .value_kind:     hidden_global_offset_y
      - .offset:         240
        .size:           8
        .value_kind:     hidden_global_offset_z
      - .offset:         248
        .size:           2
        .value_kind:     hidden_grid_dims
      - .offset:         304
        .size:           4
        .value_kind:     hidden_dynamic_lds_size
    .group_segment_fixed_size: 0
    .kernarg_segment_align: 8
    .kernarg_segment_size: 440
    .language:       OpenCL C
    .language_version:
      - 2
      - 0
    .max_flat_workgroup_size: 1024
    .name:           _ZN2at6native12_GLOBAL__N_144conv_depthwise3d_cuda_backward_weight_kernelIN3c104HalfEfLin1ELin1EEEvN5torch10headeronly6detail27GenericPackedTensorAccessorINS7_14TensorAccessorINS3_8ArrayRefIlEEKT_Lm4ENS6_16DefaultPtrTraitsEiEENS_6detail16IndexBoundsCheckILm5EiEESD_Lm5ESE_iEESJ_NS8_INS9_ISB_SC_Lm4ESE_iEESI_SC_Lm5ESE_iEEiiiiiiiii
    .private_segment_fixed_size: 0
    .sgpr_count:     50
    .sgpr_spill_count: 0
    .symbol:         _ZN2at6native12_GLOBAL__N_144conv_depthwise3d_cuda_backward_weight_kernelIN3c104HalfEfLin1ELin1EEEvN5torch10headeronly6detail27GenericPackedTensorAccessorINS7_14TensorAccessorINS3_8ArrayRefIlEEKT_Lm4ENS6_16DefaultPtrTraitsEiEENS_6detail16IndexBoundsCheckILm5EiEESD_Lm5ESE_iEESJ_NS8_INS9_ISB_SC_Lm4ESE_iEESI_SC_Lm5ESE_iEEiiiiiiiii.kd
    .uniform_work_group_size: 1
    .uses_dynamic_stack: false
    .vgpr_count:     21
    .vgpr_spill_count: 0
    .wavefront_size: 32
    .workgroup_processor_mode: 1
  - .args:
      - .offset:         0
        .size:           48
        .value_kind:     by_value
      - .offset:         48
        .size:           48
        .value_kind:     by_value
      - .offset:         96
        .size:           48
        .value_kind:     by_value
      - .offset:         144
        .size:           4
        .value_kind:     by_value
      - .offset:         148
        .size:           4
        .value_kind:     by_value
      - .offset:         152
        .size:           4
        .value_kind:     by_value
      - .offset:         156
        .size:           4
        .value_kind:     by_value
      - .offset:         160
        .size:           4
        .value_kind:     by_value
      - .offset:         164
        .size:           4
        .value_kind:     by_value
      - .offset:         168
        .size:           4
        .value_kind:     by_value
      - .offset:         172
        .size:           4
        .value_kind:     by_value
      - .offset:         176
        .size:           4
        .value_kind:     by_value
      - .offset:         184
        .size:           4
        .value_kind:     hidden_block_count_x
      - .offset:         188
        .size:           4
        .value_kind:     hidden_block_count_y
      - .offset:         192
        .size:           4
        .value_kind:     hidden_block_count_z
      - .offset:         196
        .size:           2
        .value_kind:     hidden_group_size_x
      - .offset:         198
        .size:           2
        .value_kind:     hidden_group_size_y
      - .offset:         200
        .size:           2
        .value_kind:     hidden_group_size_z
      - .offset:         202
        .size:           2
        .value_kind:     hidden_remainder_x
      - .offset:         204
        .size:           2
        .value_kind:     hidden_remainder_y
      - .offset:         206
        .size:           2
        .value_kind:     hidden_remainder_z
      - .offset:         224
        .size:           8
        .value_kind:     hidden_global_offset_x
      - .offset:         232
        .size:           8
        .value_kind:     hidden_global_offset_y
      - .offset:         240
        .size:           8
        .value_kind:     hidden_global_offset_z
      - .offset:         248
        .size:           2
        .value_kind:     hidden_grid_dims
      - .offset:         304
        .size:           4
        .value_kind:     hidden_dynamic_lds_size
    .group_segment_fixed_size: 0
    .kernarg_segment_align: 8
    .kernarg_segment_size: 440
    .language:       OpenCL C
    .language_version:
      - 2
      - 0
    .max_flat_workgroup_size: 1024
    .name:           _ZN2at6native12_GLOBAL__N_144conv_depthwise3d_cuda_backward_weight_kernelIN3c108BFloat16EfLi1ELi1EEEvN5torch10headeronly6detail27GenericPackedTensorAccessorINS7_14TensorAccessorINS3_8ArrayRefIlEEKT_Lm4ENS6_16DefaultPtrTraitsEiEENS_6detail16IndexBoundsCheckILm5EiEESD_Lm5ESE_iEESJ_NS8_INS9_ISB_SC_Lm4ESE_iEESI_SC_Lm5ESE_iEEiiiiiiiii
    .private_segment_fixed_size: 0
    .sgpr_count:     49
    .sgpr_spill_count: 0
    .symbol:         _ZN2at6native12_GLOBAL__N_144conv_depthwise3d_cuda_backward_weight_kernelIN3c108BFloat16EfLi1ELi1EEEvN5torch10headeronly6detail27GenericPackedTensorAccessorINS7_14TensorAccessorINS3_8ArrayRefIlEEKT_Lm4ENS6_16DefaultPtrTraitsEiEENS_6detail16IndexBoundsCheckILm5EiEESD_Lm5ESE_iEESJ_NS8_INS9_ISB_SC_Lm4ESE_iEESI_SC_Lm5ESE_iEEiiiiiiiii.kd
    .uniform_work_group_size: 1
    .uses_dynamic_stack: false
    .vgpr_count:     21
    .vgpr_spill_count: 0
    .wavefront_size: 32
    .workgroup_processor_mode: 1
  - .args:
      - .offset:         0
        .size:           48
        .value_kind:     by_value
      - .offset:         48
        .size:           48
        .value_kind:     by_value
      - .offset:         96
        .size:           48
        .value_kind:     by_value
      - .offset:         144
        .size:           4
        .value_kind:     by_value
      - .offset:         148
        .size:           4
        .value_kind:     by_value
      - .offset:         152
        .size:           4
        .value_kind:     by_value
      - .offset:         156
        .size:           4
        .value_kind:     by_value
      - .offset:         160
        .size:           4
        .value_kind:     by_value
      - .offset:         164
        .size:           4
        .value_kind:     by_value
      - .offset:         168
        .size:           4
        .value_kind:     by_value
      - .offset:         172
        .size:           4
        .value_kind:     by_value
      - .offset:         176
        .size:           4
        .value_kind:     by_value
      - .offset:         184
        .size:           4
        .value_kind:     hidden_block_count_x
      - .offset:         188
        .size:           4
        .value_kind:     hidden_block_count_y
      - .offset:         192
        .size:           4
        .value_kind:     hidden_block_count_z
      - .offset:         196
        .size:           2
        .value_kind:     hidden_group_size_x
      - .offset:         198
        .size:           2
        .value_kind:     hidden_group_size_y
      - .offset:         200
        .size:           2
        .value_kind:     hidden_group_size_z
      - .offset:         202
        .size:           2
        .value_kind:     hidden_remainder_x
      - .offset:         204
        .size:           2
        .value_kind:     hidden_remainder_y
      - .offset:         206
        .size:           2
        .value_kind:     hidden_remainder_z
      - .offset:         224
        .size:           8
        .value_kind:     hidden_global_offset_x
      - .offset:         232
        .size:           8
        .value_kind:     hidden_global_offset_y
      - .offset:         240
        .size:           8
        .value_kind:     hidden_global_offset_z
      - .offset:         248
        .size:           2
        .value_kind:     hidden_grid_dims
      - .offset:         304
        .size:           4
        .value_kind:     hidden_dynamic_lds_size
    .group_segment_fixed_size: 0
    .kernarg_segment_align: 8
    .kernarg_segment_size: 440
    .language:       OpenCL C
    .language_version:
      - 2
      - 0
    .max_flat_workgroup_size: 1024
    .name:           _ZN2at6native12_GLOBAL__N_144conv_depthwise3d_cuda_backward_weight_kernelIN3c108BFloat16EfLi2ELi2EEEvN5torch10headeronly6detail27GenericPackedTensorAccessorINS7_14TensorAccessorINS3_8ArrayRefIlEEKT_Lm4ENS6_16DefaultPtrTraitsEiEENS_6detail16IndexBoundsCheckILm5EiEESD_Lm5ESE_iEESJ_NS8_INS9_ISB_SC_Lm4ESE_iEESI_SC_Lm5ESE_iEEiiiiiiiii
    .private_segment_fixed_size: 0
    .sgpr_count:     49
    .sgpr_spill_count: 0
    .symbol:         _ZN2at6native12_GLOBAL__N_144conv_depthwise3d_cuda_backward_weight_kernelIN3c108BFloat16EfLi2ELi2EEEvN5torch10headeronly6detail27GenericPackedTensorAccessorINS7_14TensorAccessorINS3_8ArrayRefIlEEKT_Lm4ENS6_16DefaultPtrTraitsEiEENS_6detail16IndexBoundsCheckILm5EiEESD_Lm5ESE_iEESJ_NS8_INS9_ISB_SC_Lm4ESE_iEESI_SC_Lm5ESE_iEEiiiiiiiii.kd
    .uniform_work_group_size: 1
    .uses_dynamic_stack: false
    .vgpr_count:     21
    .vgpr_spill_count: 0
    .wavefront_size: 32
    .workgroup_processor_mode: 1
  - .args:
      - .offset:         0
        .size:           48
        .value_kind:     by_value
      - .offset:         48
        .size:           48
        .value_kind:     by_value
      - .offset:         96
        .size:           48
        .value_kind:     by_value
      - .offset:         144
        .size:           4
        .value_kind:     by_value
      - .offset:         148
        .size:           4
        .value_kind:     by_value
      - .offset:         152
        .size:           4
        .value_kind:     by_value
      - .offset:         156
        .size:           4
        .value_kind:     by_value
      - .offset:         160
        .size:           4
        .value_kind:     by_value
      - .offset:         164
        .size:           4
        .value_kind:     by_value
      - .offset:         168
        .size:           4
        .value_kind:     by_value
      - .offset:         172
        .size:           4
        .value_kind:     by_value
      - .offset:         176
        .size:           4
        .value_kind:     by_value
      - .offset:         184
        .size:           4
        .value_kind:     hidden_block_count_x
      - .offset:         188
        .size:           4
        .value_kind:     hidden_block_count_y
      - .offset:         192
        .size:           4
        .value_kind:     hidden_block_count_z
      - .offset:         196
        .size:           2
        .value_kind:     hidden_group_size_x
      - .offset:         198
        .size:           2
        .value_kind:     hidden_group_size_y
      - .offset:         200
        .size:           2
        .value_kind:     hidden_group_size_z
      - .offset:         202
        .size:           2
        .value_kind:     hidden_remainder_x
      - .offset:         204
        .size:           2
        .value_kind:     hidden_remainder_y
      - .offset:         206
        .size:           2
        .value_kind:     hidden_remainder_z
      - .offset:         224
        .size:           8
        .value_kind:     hidden_global_offset_x
      - .offset:         232
        .size:           8
        .value_kind:     hidden_global_offset_y
      - .offset:         240
        .size:           8
        .value_kind:     hidden_global_offset_z
      - .offset:         248
        .size:           2
        .value_kind:     hidden_grid_dims
      - .offset:         304
        .size:           4
        .value_kind:     hidden_dynamic_lds_size
    .group_segment_fixed_size: 0
    .kernarg_segment_align: 8
    .kernarg_segment_size: 440
    .language:       OpenCL C
    .language_version:
      - 2
      - 0
    .max_flat_workgroup_size: 1024
    .name:           _ZN2at6native12_GLOBAL__N_144conv_depthwise3d_cuda_backward_weight_kernelIN3c108BFloat16EfLin1ELin1EEEvN5torch10headeronly6detail27GenericPackedTensorAccessorINS7_14TensorAccessorINS3_8ArrayRefIlEEKT_Lm4ENS6_16DefaultPtrTraitsEiEENS_6detail16IndexBoundsCheckILm5EiEESD_Lm5ESE_iEESJ_NS8_INS9_ISB_SC_Lm4ESE_iEESI_SC_Lm5ESE_iEEiiiiiiiii
    .private_segment_fixed_size: 0
    .sgpr_count:     50
    .sgpr_spill_count: 0
    .symbol:         _ZN2at6native12_GLOBAL__N_144conv_depthwise3d_cuda_backward_weight_kernelIN3c108BFloat16EfLin1ELin1EEEvN5torch10headeronly6detail27GenericPackedTensorAccessorINS7_14TensorAccessorINS3_8ArrayRefIlEEKT_Lm4ENS6_16DefaultPtrTraitsEiEENS_6detail16IndexBoundsCheckILm5EiEESD_Lm5ESE_iEESJ_NS8_INS9_ISB_SC_Lm4ESE_iEESI_SC_Lm5ESE_iEEiiiiiiiii.kd
    .uniform_work_group_size: 1
    .uses_dynamic_stack: false
    .vgpr_count:     21
    .vgpr_spill_count: 0
    .wavefront_size: 32
    .workgroup_processor_mode: 1
amdhsa.target:   amdgcn-amd-amdhsa--gfx1100
amdhsa.version:
  - 1
  - 2
...

	.end_amdgpu_metadata
